;; amdgpu-corpus repo=ROCm/rocFFT kind=compiled arch=gfx906 opt=O3
	.text
	.amdgcn_target "amdgcn-amd-amdhsa--gfx906"
	.amdhsa_code_object_version 6
	.protected	bluestein_single_fwd_len99_dim1_half_op_CI_CI ; -- Begin function bluestein_single_fwd_len99_dim1_half_op_CI_CI
	.globl	bluestein_single_fwd_len99_dim1_half_op_CI_CI
	.p2align	8
	.type	bluestein_single_fwd_len99_dim1_half_op_CI_CI,@function
bluestein_single_fwd_len99_dim1_half_op_CI_CI: ; @bluestein_single_fwd_len99_dim1_half_op_CI_CI
; %bb.0:
	v_mul_u32_u24_e32 v1, 0x1746, v0
	s_load_dwordx4 s[16:19], s[4:5], 0x28
	v_lshrrev_b32_e32 v1, 16, v1
	v_mad_u64_u32 v[8:9], s[0:1], s6, 20, v[1:2]
	v_mov_b32_e32 v9, 0
                                        ; kill: def $vgpr2 killed $sgpr0 killed $exec
	s_waitcnt lgkmcnt(0)
	v_cmp_gt_u64_e32 vcc, s[16:17], v[8:9]
	s_and_saveexec_b64 s[0:1], vcc
	s_cbranch_execz .LBB0_10
; %bb.1:
	s_load_dwordx4 s[0:3], s[4:5], 0x18
	s_load_dwordx4 s[12:15], s[4:5], 0x0
	v_mul_lo_u16_e32 v1, 11, v1
	v_sub_u16_e32 v38, v0, v1
                                        ; implicit-def: $vgpr57
                                        ; implicit-def: $vgpr59
                                        ; implicit-def: $vgpr66
	s_waitcnt lgkmcnt(0)
	s_load_dwordx4 s[8:11], s[0:1], 0x0
	s_waitcnt lgkmcnt(0)
	v_mad_u64_u32 v[0:1], s[0:1], s10, v8, 0
	v_mad_u64_u32 v[2:3], s[0:1], s8, v38, 0
	s_mul_i32 s7, s8, 0x84
	v_mad_u64_u32 v[4:5], s[0:1], s11, v8, v[1:2]
	v_mad_u64_u32 v[5:6], s[0:1], s9, v38, v[3:4]
	v_mov_b32_e32 v1, v4
	v_lshlrev_b64 v[0:1], 2, v[0:1]
	v_mov_b32_e32 v6, s19
	v_mov_b32_e32 v3, v5
	v_add_co_u32_e32 v4, vcc, s18, v0
	v_addc_co_u32_e32 v5, vcc, v6, v1, vcc
	v_lshlrev_b64 v[0:1], 2, v[2:3]
	s_mul_i32 s0, s9, 0x84
	v_add_co_u32_e32 v2, vcc, v4, v0
	s_mul_hi_u32 s1, s8, 0x84
	v_addc_co_u32_e32 v3, vcc, v5, v1, vcc
	v_lshlrev_b32_e32 v0, 2, v38
	s_add_i32 s6, s1, s0
	global_load_dword v4, v[2:3], off
	global_load_dword v39, v0, s[12:13]
	v_mov_b32_e32 v5, s6
	v_add_co_u32_e32 v1, vcc, s7, v2
	v_addc_co_u32_e32 v2, vcc, v3, v5, vcc
	global_load_dword v3, v[1:2], off
	global_load_dword v37, v0, s[12:13] offset:132
	v_add_co_u32_e32 v1, vcc, s7, v1
	v_addc_co_u32_e32 v2, vcc, v2, v5, vcc
	v_mov_b32_e32 v6, 0xffffff24
	global_load_dword v5, v[1:2], off
	v_mad_u64_u32 v[1:2], s[0:1], s8, v6, v[1:2]
	global_load_dword v36, v0, s[12:13] offset:264
	s_mul_i32 s0, s9, 0xffffff24
	s_sub_i32 s9, s0, s8
	v_add_u32_e32 v2, s9, v2
	global_load_dword v7, v[1:2], off
	global_load_dword v35, v0, s[12:13] offset:44
	v_mov_b32_e32 v9, s6
	v_add_co_u32_e32 v1, vcc, s7, v1
	v_addc_co_u32_e32 v2, vcc, v2, v9, vcc
	global_load_dword v9, v[1:2], off
	global_load_dword v34, v0, s[12:13] offset:176
	v_mov_b32_e32 v10, s6
	v_add_co_u32_e32 v1, vcc, s7, v1
	v_addc_co_u32_e32 v2, vcc, v2, v10, vcc
	global_load_dword v10, v[1:2], off
	v_mad_u64_u32 v[1:2], s[0:1], s8, v6, v[1:2]
	global_load_dword v33, v0, s[12:13] offset:308
	v_mov_b32_e32 v11, s6
	v_add_u32_e32 v2, s9, v2
	global_load_dword v6, v[1:2], off
	global_load_dword v31, v0, s[12:13] offset:220
	global_load_dword v32, v0, s[12:13] offset:88
	v_add_co_u32_e32 v1, vcc, s7, v1
	v_addc_co_u32_e32 v2, vcc, v2, v11, vcc
	global_load_dword v11, v[1:2], off
	v_mov_b32_e32 v12, s6
	v_add_co_u32_e32 v1, vcc, s7, v1
	v_addc_co_u32_e32 v2, vcc, v2, v12, vcc
	global_load_dword v12, v[1:2], off
	global_load_dword v29, v0, s[12:13] offset:352
	s_mov_b32 s0, 0xcccccccd
	v_mul_hi_u32 v1, v8, s0
	s_load_dwordx4 s[8:11], s[2:3], 0x0
	s_movk_i32 s0, 0x3aee
	s_mov_b32 s1, 0xffff
	v_lshrrev_b32_e32 v1, 4, v1
	v_mul_lo_u32 v1, v1, 20
	s_load_dwordx2 s[2:3], s[4:5], 0x38
	v_sub_u32_e32 v1, v8, v1
	v_mul_u32_u24_e32 v1, 0x63, v1
	v_lshlrev_b32_e32 v40, 2, v1
	v_add_u32_e32 v30, v0, v40
	s_waitcnt vmcnt(17)
	v_lshrrev_b32_e32 v1, 16, v4
	s_waitcnt vmcnt(16)
	v_mul_f16_sdwa v2, v39, v4 dst_sel:DWORD dst_unused:UNUSED_PAD src0_sel:WORD_1 src1_sel:DWORD
	v_mul_f16_sdwa v13, v39, v1 dst_sel:DWORD dst_unused:UNUSED_PAD src0_sel:WORD_1 src1_sel:DWORD
	v_fma_f16 v1, v39, v1, -v2
	v_fma_f16 v4, v39, v4, v13
	v_pack_b32_f16 v1, v4, v1
	s_waitcnt vmcnt(15)
	v_lshrrev_b32_e32 v2, 16, v3
	s_waitcnt vmcnt(14)
	v_mul_f16_sdwa v13, v37, v2 dst_sel:DWORD dst_unused:UNUSED_PAD src0_sel:WORD_1 src1_sel:DWORD
	v_fma_f16 v4, v37, v3, v13
	v_mul_f16_sdwa v3, v37, v3 dst_sel:DWORD dst_unused:UNUSED_PAD src0_sel:WORD_1 src1_sel:DWORD
	v_fma_f16 v2, v37, v2, -v3
	v_pack_b32_f16 v2, v4, v2
	ds_write_b32 v30, v2 offset:132
	s_waitcnt vmcnt(13)
	v_lshrrev_b32_e32 v2, 16, v5
	s_waitcnt vmcnt(12)
	v_mul_f16_sdwa v3, v36, v2 dst_sel:DWORD dst_unused:UNUSED_PAD src0_sel:WORD_1 src1_sel:DWORD
	v_mul_f16_sdwa v4, v36, v5 dst_sel:DWORD dst_unused:UNUSED_PAD src0_sel:WORD_1 src1_sel:DWORD
	v_fma_f16 v3, v36, v5, v3
	v_fma_f16 v2, v36, v2, -v4
	v_pack_b32_f16 v2, v3, v2
	ds_write_b32 v30, v2 offset:264
	s_waitcnt vmcnt(11)
	v_lshrrev_b32_e32 v2, 16, v7
	s_waitcnt vmcnt(10)
	v_mul_f16_sdwa v3, v35, v2 dst_sel:DWORD dst_unused:UNUSED_PAD src0_sel:WORD_1 src1_sel:DWORD
	v_mul_f16_sdwa v4, v35, v7 dst_sel:DWORD dst_unused:UNUSED_PAD src0_sel:WORD_1 src1_sel:DWORD
	v_fma_f16 v3, v35, v7, v3
	v_fma_f16 v2, v35, v2, -v4
	v_pack_b32_f16 v2, v3, v2
	ds_write2_b32 v30, v1, v2 offset1:11
	s_waitcnt vmcnt(9)
	v_lshrrev_b32_e32 v1, 16, v9
	s_waitcnt vmcnt(8)
	v_mul_f16_sdwa v2, v34, v1 dst_sel:DWORD dst_unused:UNUSED_PAD src0_sel:WORD_1 src1_sel:DWORD
	v_mul_f16_sdwa v3, v34, v9 dst_sel:DWORD dst_unused:UNUSED_PAD src0_sel:WORD_1 src1_sel:DWORD
	v_fma_f16 v2, v34, v9, v2
	v_fma_f16 v1, v34, v1, -v3
	v_pack_b32_f16 v1, v2, v1
	s_waitcnt vmcnt(7)
	v_lshrrev_b32_e32 v2, 16, v10
	s_waitcnt vmcnt(6)
	v_mul_f16_sdwa v3, v33, v2 dst_sel:DWORD dst_unused:UNUSED_PAD src0_sel:WORD_1 src1_sel:DWORD
	v_mul_f16_sdwa v4, v33, v10 dst_sel:DWORD dst_unused:UNUSED_PAD src0_sel:WORD_1 src1_sel:DWORD
	v_fma_f16 v3, v33, v10, v3
	v_fma_f16 v2, v33, v2, -v4
	v_pack_b32_f16 v2, v3, v2
	;; [unrolled: 8-line block ×3, first 2 shown]
	ds_write_b32 v30, v3 offset:88
	s_waitcnt vmcnt(2)
	v_lshrrev_b32_e32 v3, 16, v11
	v_mul_f16_sdwa v4, v31, v3 dst_sel:DWORD dst_unused:UNUSED_PAD src0_sel:WORD_1 src1_sel:DWORD
	v_mul_f16_sdwa v5, v31, v11 dst_sel:DWORD dst_unused:UNUSED_PAD src0_sel:WORD_1 src1_sel:DWORD
	v_fma_f16 v4, v31, v11, v4
	v_fma_f16 v3, v31, v3, -v5
	v_pack_b32_f16 v3, v4, v3
	ds_write2_b32 v30, v1, v3 offset0:44 offset1:55
	s_waitcnt vmcnt(1)
	v_lshrrev_b32_e32 v1, 16, v12
	s_waitcnt vmcnt(0)
	v_mul_f16_sdwa v3, v29, v1 dst_sel:DWORD dst_unused:UNUSED_PAD src0_sel:WORD_1 src1_sel:DWORD
	v_mul_f16_sdwa v4, v29, v12 dst_sel:DWORD dst_unused:UNUSED_PAD src0_sel:WORD_1 src1_sel:DWORD
	v_fma_f16 v3, v29, v12, v3
	v_fma_f16 v1, v29, v1, -v4
	v_pack_b32_f16 v1, v3, v1
	ds_write2_b32 v30, v2, v1 offset0:77 offset1:88
	v_mul_lo_u16_e32 v1, 3, v38
	s_waitcnt lgkmcnt(0)
	s_barrier
	v_lshl_add_u32 v41, v1, 2, v40
	ds_read2_b32 v[1:2], v30 offset0:66 offset1:77
	ds_read2_b32 v[3:4], v30 offset0:22 offset1:33
	ds_read2_b32 v[5:6], v30 offset1:11
	ds_read2_b32 v[9:10], v30 offset0:44 offset1:55
	ds_read_b32 v7, v30 offset:352
	s_waitcnt lgkmcnt(0)
	v_pk_add_f16 v11, v4, v1
	v_pk_add_f16 v12, v4, v1 neg_lo:[0,1] neg_hi:[0,1]
	v_pk_fma_f16 v11, v11, 0.5, v5 op_sel_hi:[1,0,1] neg_lo:[1,0,0] neg_hi:[1,0,0]
	v_pk_mul_f16 v12, v12, s0 op_sel_hi:[1,0]
	v_pk_add_f16 v13, v11, v12 op_sel:[0,1] op_sel_hi:[1,0]
	v_pk_add_f16 v11, v11, v12 op_sel:[0,1] op_sel_hi:[1,0] neg_lo:[0,1] neg_hi:[0,1]
	v_pk_add_f16 v4, v5, v4
	v_pk_add_f16 v1, v4, v1
	v_bfi_b32 v4, s1, v13, v11
	s_barrier
	ds_write2_b32 v41, v1, v4 offset1:1
	v_pk_add_f16 v4, v6, v9
	v_pk_add_f16 v1, v9, v2
	;; [unrolled: 1-line block ×3, first 2 shown]
	v_pk_add_f16 v2, v9, v2 neg_lo:[0,1] neg_hi:[0,1]
	v_pk_fma_f16 v1, v1, 0.5, v6 op_sel_hi:[1,0,1] neg_lo:[1,0,0] neg_hi:[1,0,0]
	v_add_co_u32_e32 v5, vcc, 11, v38
	v_pk_mul_f16 v2, v2, s0 op_sel_hi:[1,0]
	v_pk_add_f16 v6, v1, v2 op_sel:[0,1] op_sel_hi:[1,0]
	v_pk_add_f16 v1, v1, v2 op_sel:[0,1] op_sel_hi:[1,0] neg_lo:[0,1] neg_hi:[0,1]
	v_bfi_b32 v9, s1, v11, v13
	v_mul_u32_u24_e32 v11, 3, v5
	v_bfi_b32 v2, s1, v6, v1
	v_bfi_b32 v1, s1, v1, v6
	v_lshl_add_u32 v43, v11, 2, v40
	ds_write_b32 v41, v9 offset:8
	ds_write_b32 v43, v1 offset:8
	v_pk_add_f16 v1, v10, v7
	ds_write2_b32 v43, v4, v2 offset1:1
	v_pk_add_f16 v2, v3, v10
	v_pk_fma_f16 v1, v1, 0.5, v3 op_sel_hi:[1,0,1] neg_lo:[1,0,0] neg_hi:[1,0,0]
	v_pk_add_f16 v3, v10, v7 neg_lo:[0,1] neg_hi:[0,1]
	v_add_co_u32_e32 v6, vcc, 22, v38
	v_pk_mul_f16 v3, v3, s0 op_sel_hi:[1,0]
	v_mul_u32_u24_e32 v9, 3, v6
	v_pk_add_f16 v4, v1, v3 op_sel:[0,1] op_sel_hi:[1,0]
	v_pk_add_f16 v1, v1, v3 op_sel:[0,1] op_sel_hi:[1,0] neg_lo:[0,1] neg_hi:[0,1]
	v_lshl_add_u32 v42, v9, 2, v40
	v_bfi_b32 v3, s1, v4, v1
	v_bfi_b32 v1, s1, v1, v4
	s_movk_i32 s1, 0xab
	ds_write_b32 v42, v1 offset:8
	v_mul_lo_u16_sdwa v1, v5, s1 dst_sel:DWORD dst_unused:UNUSED_PAD src0_sel:BYTE_0 src1_sel:DWORD
	v_pk_add_f16 v2, v2, v7
	v_lshrrev_b16_e32 v7, 9, v1
	v_mul_lo_u16_e32 v1, 3, v7
	v_sub_u16_e32 v19, v5, v1
	v_lshlrev_b16_e32 v1, 1, v19
	v_and_b32_e32 v1, 0xfe, v1
	v_lshlrev_b32_e32 v1, 2, v1
	ds_write2_b32 v42, v2, v3 offset1:1
	s_waitcnt lgkmcnt(0)
	s_barrier
	global_load_dwordx2 v[9:10], v1, s[14:15]
	v_mul_lo_u16_sdwa v1, v6, s1 dst_sel:DWORD dst_unused:UNUSED_PAD src0_sel:BYTE_0 src1_sel:DWORD
	v_lshrrev_b16_e32 v20, 9, v1
	v_mul_lo_u16_e32 v1, 3, v20
	v_sub_u16_e32 v25, v6, v1
	v_mov_b32_e32 v1, 3
	v_lshlrev_b32_sdwa v1, v1, v25 dst_sel:DWORD dst_unused:UNUSED_PAD src0_sel:DWORD src1_sel:BYTE_0
	global_load_dwordx2 v[11:12], v1, s[14:15]
	v_mul_lo_u16_sdwa v1, v38, s1 dst_sel:DWORD dst_unused:UNUSED_PAD src0_sel:BYTE_0 src1_sel:DWORD
	v_lshrrev_b16_e32 v17, 9, v1
	v_mul_lo_u16_e32 v1, 3, v17
	v_sub_u16_e32 v18, v38, v1
	v_lshlrev_b16_e32 v1, 1, v18
	v_and_b32_e32 v1, 0xfe, v1
	v_lshlrev_b32_e32 v1, 2, v1
	global_load_dwordx2 v[13:14], v1, s[14:15]
	ds_read2_b32 v[1:2], v30 offset0:44 offset1:55
	ds_read2_b32 v[3:4], v30 offset0:66 offset1:77
	s_mov_b32 s1, 0xbaee
	ds_read_b32 v46, v30 offset:352
	s_waitcnt lgkmcnt(2)
	v_lshrrev_b32_e32 v5, 16, v1
	s_waitcnt lgkmcnt(1)
	v_lshrrev_b32_e32 v15, 16, v4
	v_lshrrev_b32_e32 v23, 16, v3
	s_waitcnt vmcnt(2)
	v_mul_f16_sdwa v6, v1, v9 dst_sel:DWORD dst_unused:UNUSED_PAD src0_sel:DWORD src1_sel:WORD_1
	v_fma_f16 v26, v5, v9, v6
	v_mul_f16_sdwa v5, v5, v9 dst_sel:DWORD dst_unused:UNUSED_PAD src0_sel:DWORD src1_sel:WORD_1
	v_fma_f16 v1, v1, v9, -v5
	v_mul_f16_sdwa v5, v4, v10 dst_sel:DWORD dst_unused:UNUSED_PAD src0_sel:DWORD src1_sel:WORD_1
	v_fma_f16 v27, v15, v10, v5
	ds_read2_b32 v[5:6], v30 offset1:11
	v_mul_f16_sdwa v15, v15, v10 dst_sel:DWORD dst_unused:UNUSED_PAD src0_sel:DWORD src1_sel:WORD_1
	v_fma_f16 v4, v4, v10, -v15
	v_add_f16_e32 v15, v1, v4
	v_sub_f16_e32 v16, v26, v27
	s_waitcnt lgkmcnt(0)
	v_fma_f16 v15, v15, -0.5, v6
	v_fma_f16 v21, v16, s0, v15
	v_fma_f16 v22, v16, s1, v15
	ds_read2_b32 v[15:16], v30 offset0:22 offset1:33
	s_waitcnt vmcnt(0)
	v_mul_f16_sdwa v24, v23, v14 dst_sel:DWORD dst_unused:UNUSED_PAD src0_sel:DWORD src1_sel:WORD_1
	v_fma_f16 v24, v3, v14, -v24
	v_mul_f16_sdwa v3, v3, v14 dst_sel:DWORD dst_unused:UNUSED_PAD src0_sel:DWORD src1_sel:WORD_1
	v_fma_f16 v3, v23, v14, v3
	s_waitcnt lgkmcnt(0)
	v_lshrrev_b32_e32 v23, 16, v16
	v_mul_f16_sdwa v28, v16, v13 dst_sel:DWORD dst_unused:UNUSED_PAD src0_sel:DWORD src1_sel:WORD_1
	v_fma_f16 v28, v23, v13, v28
	v_lshrrev_b32_e32 v44, 16, v5
	v_add_f16_e32 v45, v44, v28
	v_add_f16_e32 v47, v45, v3
	v_sub_f16_e32 v45, v28, v3
	v_add_f16_e32 v3, v28, v3
	v_mad_legacy_u16 v28, v17, 9, v18
	v_mul_f16_sdwa v17, v23, v13 dst_sel:DWORD dst_unused:UNUSED_PAD src0_sel:DWORD src1_sel:WORD_1
	v_fma_f16 v16, v16, v13, -v17
	v_add_f16_e32 v18, v16, v24
	v_fma_f16 v3, v3, -0.5, v44
	v_add_f16_e32 v17, v5, v16
	v_sub_f16_e32 v16, v16, v24
	v_fma_f16 v5, v18, -0.5, v5
	v_add_f16_e32 v17, v17, v24
	v_fma_f16 v18, v45, s0, v5
	v_and_b32_e32 v23, 0xff, v28
	v_fma_f16 v48, v16, s1, v3
	v_lshl_add_u32 v44, v23, 2, v40
	v_pack_b32_f16 v23, v17, v47
	v_pack_b32_f16 v24, v18, v48
	v_fma_f16 v50, v16, s0, v3
	v_lshrrev_b32_e32 v3, 16, v6
	s_barrier
	ds_write2_b32 v44, v23, v24 offset1:3
	v_add_f16_e32 v6, v6, v1
	v_fma_f16 v23, v45, s1, v5
	v_add_f16_e32 v5, v3, v26
	v_add_f16_e32 v24, v6, v4
	v_add_f16_e32 v51, v5, v27
	v_add_f16_e32 v5, v26, v27
	v_sub_f16_e32 v1, v1, v4
	v_pack_b32_f16 v4, v23, v50
	v_fma_f16 v3, v5, -0.5, v3
	ds_write_b32 v44, v4 offset:24
	v_mad_legacy_u16 v4, v7, 9, v19
	v_and_b32_e32 v4, 0xff, v4
	v_fma_f16 v52, v1, s1, v3
	v_lshl_add_u32 v45, v4, 2, v40
	v_pack_b32_f16 v4, v24, v51
	v_pack_b32_f16 v5, v21, v52
	ds_write2_b32 v45, v4, v5 offset1:3
	v_lshrrev_b32_e32 v4, 16, v2
	v_mul_f16_sdwa v5, v4, v11 dst_sel:DWORD dst_unused:UNUSED_PAD src0_sel:DWORD src1_sel:WORD_1
	v_fma_f16 v5, v2, v11, -v5
	v_mul_f16_sdwa v2, v2, v11 dst_sel:DWORD dst_unused:UNUSED_PAD src0_sel:DWORD src1_sel:WORD_1
	v_fma_f16 v2, v4, v11, v2
	v_lshrrev_b32_e32 v4, 16, v46
	v_mul_f16_sdwa v6, v4, v12 dst_sel:DWORD dst_unused:UNUSED_PAD src0_sel:DWORD src1_sel:WORD_1
	v_fma_f16 v6, v46, v12, -v6
	v_mul_f16_sdwa v7, v46, v12 dst_sel:DWORD dst_unused:UNUSED_PAD src0_sel:DWORD src1_sel:WORD_1
	v_fma_f16 v53, v1, s0, v3
	v_add_f16_e32 v1, v5, v6
	v_lshrrev_b32_e32 v3, 16, v15
	v_fma_f16 v4, v4, v12, v7
	v_fma_f16 v1, v1, -0.5, v15
	v_add_f16_e32 v7, v15, v5
	v_add_f16_e32 v15, v3, v2
	;; [unrolled: 1-line block ×3, first 2 shown]
	v_sub_f16_e32 v15, v2, v4
	v_add_f16_e32 v2, v2, v4
	v_fma_f16 v2, v2, -0.5, v3
	v_pack_b32_f16 v3, v22, v53
	ds_write_b32 v45, v3 offset:24
	v_mul_u32_u24_e32 v3, 9, v20
	v_sub_f16_e32 v4, v5, v6
	v_add_u32_sdwa v3, v3, v25 dst_sel:DWORD dst_unused:UNUSED_PAD src0_sel:DWORD src1_sel:BYTE_0
	v_add_f16_e32 v25, v7, v6
	v_fma_f16 v26, v15, s0, v1
	v_fma_f16 v55, v4, s1, v2
	v_lshl_add_u32 v46, v3, 2, v40
	v_pack_b32_f16 v3, v25, v54
	v_pack_b32_f16 v5, v26, v55
	ds_write2_b32 v46, v3, v5 offset1:3
	v_mov_b32_e32 v3, s13
	v_add_co_u32_e32 v19, vcc, s12, v0
	v_addc_co_u32_e32 v20, vcc, 0, v3, vcc
	v_fma_f16 v56, v4, s0, v2
	v_fma_f16 v27, v15, s1, v1
	v_pack_b32_f16 v0, v27, v56
	v_cmp_gt_u16_e32 vcc, 9, v38
	ds_write_b32 v46, v0 offset:24
	s_waitcnt lgkmcnt(0)
	s_barrier
	s_and_saveexec_b64 s[0:1], vcc
	s_cbranch_execz .LBB0_3
; %bb.2:
	ds_read2_b32 v[17:18], v30 offset1:9
	ds_read2_b32 v[23:24], v30 offset0:18 offset1:27
	ds_read2_b32 v[21:22], v30 offset0:36 offset1:45
	;; [unrolled: 1-line block ×4, first 2 shown]
	ds_read_b32 v59, v30 offset:360
	s_waitcnt lgkmcnt(5)
	v_lshrrev_b32_e32 v47, 16, v17
	v_lshrrev_b32_e32 v48, 16, v18
	s_waitcnt lgkmcnt(4)
	v_lshrrev_b32_e32 v50, 16, v23
	v_lshrrev_b32_e32 v51, 16, v24
	;; [unrolled: 3-line block ×5, first 2 shown]
	s_waitcnt lgkmcnt(0)
	v_lshrrev_b32_e32 v66, 16, v59
.LBB0_3:
	s_or_b64 exec, exec, s[0:1]
	v_add_u32_e32 v0, -9, v38
	v_cndmask_b32_e32 v0, v0, v38, vcc
	v_mul_hi_i32_i24_e32 v1, 40, v0
	v_mul_i32_i24_e32 v0, 40, v0
	v_mov_b32_e32 v2, s15
	v_add_co_u32_e64 v60, s[0:1], s14, v0
	v_addc_co_u32_e64 v61, s[0:1], v2, v1, s[0:1]
	global_load_dwordx4 v[0:3], v[60:61], off offset:24
	global_load_dwordx4 v[4:7], v[60:61], off offset:40
	global_load_dwordx2 v[15:16], v[60:61], off offset:56
	s_movk_i32 s4, 0x3abb
	s_movk_i32 s5, 0x36a6
	s_mov_b32 s7, 0xb08e
	s_mov_b32 s6, 0xb93d
	;; [unrolled: 1-line block ×3, first 2 shown]
	s_waitcnt vmcnt(2)
	v_mul_f16_sdwa v49, v48, v0 dst_sel:DWORD dst_unused:UNUSED_PAD src0_sel:DWORD src1_sel:WORD_1
	v_mul_f16_sdwa v60, v18, v0 dst_sel:DWORD dst_unused:UNUSED_PAD src0_sel:DWORD src1_sel:WORD_1
	s_waitcnt vmcnt(1)
	v_mul_f16_sdwa v69, v22, v4 dst_sel:DWORD dst_unused:UNUSED_PAD src0_sel:DWORD src1_sel:WORD_1
	s_waitcnt vmcnt(0)
	v_mul_f16_sdwa v78, v66, v16 dst_sel:DWORD dst_unused:UNUSED_PAD src0_sel:DWORD src1_sel:WORD_1
	v_mul_f16_sdwa v79, v59, v16 dst_sel:DWORD dst_unused:UNUSED_PAD src0_sel:DWORD src1_sel:WORD_1
	;; [unrolled: 1-line block ×5, first 2 shown]
	v_fma_f16 v58, v18, v0, -v49
	v_fma_f16 v49, v48, v0, v60
	v_fma_f16 v53, v53, v4, v69
	v_fma_f16 v69, v59, v16, -v78
	v_fma_f16 v59, v66, v16, v79
	v_mul_f16_sdwa v61, v50, v1 dst_sel:DWORD dst_unused:UNUSED_PAD src0_sel:DWORD src1_sel:WORD_1
	v_mul_f16_sdwa v63, v51, v2 dst_sel:DWORD dst_unused:UNUSED_PAD src0_sel:DWORD src1_sel:WORD_1
	;; [unrolled: 1-line block ×6, first 2 shown]
	v_fma_f16 v50, v50, v1, v62
	v_fma_f16 v57, v57, v15, v77
	v_sub_f16_e32 v80, v49, v59
	v_mul_f16_sdwa v67, v21, v3 dst_sel:DWORD dst_unused:UNUSED_PAD src0_sel:DWORD src1_sel:WORD_1
	v_mul_f16_sdwa v70, v54, v5 dst_sel:DWORD dst_unused:UNUSED_PAD src0_sel:DWORD src1_sel:WORD_1
	;; [unrolled: 1-line block ×4, first 2 shown]
	v_fma_f16 v60, v23, v1, -v61
	v_fma_f16 v61, v24, v2, -v63
	v_fma_f16 v51, v51, v2, v64
	v_fma_f16 v63, v22, v4, -v68
	v_fma_f16 v55, v55, v6, v73
	v_fma_f16 v56, v56, v7, v75
	v_fma_f16 v68, v28, v15, -v76
	v_add_f16_e32 v24, v58, v69
	v_sub_f16_e32 v87, v58, v69
	v_sub_f16_e32 v81, v50, v57
	v_mul_f16_e32 v73, 0xb853, v80
	v_mul_f16_sdwa v65, v52, v3 dst_sel:DWORD dst_unused:UNUSED_PAD src0_sel:DWORD src1_sel:WORD_1
	v_mul_f16_sdwa v71, v25, v5 dst_sel:DWORD dst_unused:UNUSED_PAD src0_sel:DWORD src1_sel:WORD_1
	v_fma_f16 v52, v52, v3, v67
	v_fma_f16 v64, v25, v5, -v70
	v_fma_f16 v67, v27, v7, -v74
	v_add_f16_e32 v27, v49, v59
	v_add_f16_e32 v25, v60, v68
	v_sub_f16_e32 v88, v60, v68
	v_sub_f16_e32 v84, v51, v56
	v_mul_f16_e32 v75, 0xb853, v87
	v_mul_f16_e32 v74, 0xbb47, v81
	v_fma_f16 v18, v24, s4, v73
	v_fma_f16 v62, v21, v3, -v65
	v_fma_f16 v65, v26, v6, -v72
	v_add_f16_e32 v28, v50, v57
	v_add_f16_e32 v26, v61, v67
	v_sub_f16_e32 v89, v61, v67
	v_mul_f16_e32 v77, 0xbb47, v80
	v_mul_f16_e32 v76, 0xbb47, v88
	v_fma_f16 v21, v27, s4, -v75
	v_fma_f16 v66, v25, s5, v74
	v_add_f16_e32 v18, v17, v18
	v_mul_f16_e32 v79, 0xbbeb, v84
	v_add_f16_e32 v48, v51, v56
	v_mul_f16_e32 v82, 0xbb47, v87
	v_mul_f16_e32 v78, 0xba0c, v81
	v_fma_f16 v22, v24, s5, v77
	v_fma_f16 v70, v28, s5, -v76
	v_add_f16_e32 v21, v47, v21
	v_add_f16_e32 v18, v66, v18
	v_fma_f16 v66, v26, s7, v79
	v_mul_f16_e32 v85, 0xbbeb, v89
	v_fma_f16 v54, v54, v5, v71
	v_mul_f16_e32 v83, 0xba0c, v88
	v_fma_f16 v23, v27, s5, -v82
	v_fma_f16 v71, v25, s6, v78
	v_add_f16_e32 v22, v17, v22
	v_add_f16_e32 v21, v70, v21
	;; [unrolled: 1-line block ×3, first 2 shown]
	v_fma_f16 v66, v48, s7, -v85
	v_mul_f16_e32 v90, 0x3482, v84
	v_fma_f16 v72, v28, s6, -v83
	v_add_f16_e32 v23, v47, v23
	v_add_f16_e32 v22, v71, v22
	;; [unrolled: 1-line block ×3, first 2 shown]
	v_fma_f16 v66, v26, s14, v90
	v_mul_f16_e32 v93, 0x3482, v89
	v_add_f16_e32 v23, v72, v23
	v_add_f16_e32 v22, v66, v22
	v_fma_f16 v66, v48, s14, -v93
	v_sub_f16_e32 v96, v52, v55
	v_add_f16_e32 v23, v66, v23
	v_add_f16_e32 v66, v62, v65
	v_mul_f16_e32 v86, 0xba0c, v96
	v_fma_f16 v70, v66, s6, v86
	v_sub_f16_e32 v101, v62, v65
	v_add_f16_e32 v18, v70, v18
	v_add_f16_e32 v70, v52, v55
	v_mul_f16_e32 v91, 0xba0c, v101
	v_fma_f16 v71, v70, s6, -v91
	v_mul_f16_e32 v94, 0x3beb, v96
	v_add_f16_e32 v98, v71, v21
	v_fma_f16 v21, v66, s7, v94
	v_mul_f16_e32 v97, 0x3beb, v101
	v_sub_f16_e32 v100, v53, v54
	v_add_f16_e32 v103, v21, v22
	v_fma_f16 v21, v70, s7, -v97
	v_add_f16_e32 v71, v63, v64
	v_mul_f16_e32 v92, 0xb482, v100
	v_sub_f16_e32 v102, v63, v64
	v_add_f16_e32 v22, v21, v23
	v_fma_f16 v21, v71, s14, v92
	v_add_f16_e32 v72, v53, v54
	v_mul_f16_e32 v95, 0xb482, v102
	v_add_f16_e32 v21, v21, v18
	v_fma_f16 v18, v72, s14, -v95
	v_mul_f16_e32 v99, 0x3853, v102
	v_add_f16_e32 v23, v18, v98
	v_fma_f16 v18, v72, s4, -v99
	v_mul_f16_e32 v98, 0x3853, v100
	v_add_f16_e32 v22, v18, v22
	v_fma_f16 v18, v71, s4, v98
	v_add_f16_e32 v18, v18, v103
	s_and_saveexec_b64 s[0:1], vcc
	s_cbranch_execz .LBB0_5
; %bb.4:
	v_mul_f16_e32 v122, 0xb482, v87
	v_fma_f16 v123, v27, s14, v122
	v_mul_f16_e32 v124, 0x3853, v88
	v_add_f16_e32 v123, v47, v123
	v_fma_f16 v125, v28, s4, v124
	v_add_f16_e32 v123, v125, v123
	v_mul_f16_e32 v125, 0xba0c, v89
	v_fma_f16 v126, v48, s6, v125
	v_add_f16_e32 v123, v126, v123
	v_mul_f16_e32 v126, 0x3b47, v101
	;; [unrolled: 3-line block ×4, first 2 shown]
	v_fma_f16 v129, v24, s14, -v128
	v_mul_f16_e32 v130, 0x3853, v81
	v_add_f16_e32 v129, v17, v129
	v_fma_f16 v131, v25, s4, -v130
	v_add_f16_e32 v129, v131, v129
	v_mul_f16_e32 v131, 0xba0c, v84
	v_fma_f16 v132, v26, s6, -v131
	v_add_f16_e32 v129, v132, v129
	v_mul_f16_e32 v132, 0x3b47, v96
	;; [unrolled: 3-line block ×4, first 2 shown]
	v_fma_f16 v135, v27, s6, v134
	v_mul_f16_e32 v136, 0x3beb, v88
	v_add_f16_e32 v135, v47, v135
	v_fma_f16 v137, v28, s7, v136
	v_add_f16_e32 v135, v137, v135
	v_mul_f16_e32 v137, 0xb853, v89
	v_fma_f16 v138, v48, s4, v137
	v_add_f16_e32 v135, v138, v135
	v_mul_f16_e32 v138, 0xb482, v101
	;; [unrolled: 3-line block ×4, first 2 shown]
	v_add_f16_e32 v49, v47, v49
	v_fma_f16 v141, v24, s6, -v140
	v_mul_f16_e32 v142, 0x3beb, v81
	v_add_f16_e32 v49, v49, v50
	v_fma_f16 v50, v27, s14, -v122
	v_add_f16_e32 v141, v17, v141
	v_fma_f16 v143, v25, s7, -v142
	v_add_f16_e32 v49, v49, v51
	v_add_f16_e32 v50, v47, v50
	v_fma_f16 v51, v28, s4, -v124
	v_add_f16_e32 v141, v143, v141
	v_mul_f16_e32 v143, 0xb853, v84
	v_add_f16_e32 v50, v51, v50
	v_fma_f16 v51, v48, s6, -v125
	v_fma_f16 v144, v26, s4, -v143
	v_add_f16_e32 v50, v51, v50
	v_fma_f16 v51, v70, s5, -v126
	v_add_f16_e32 v141, v144, v141
	v_mul_f16_e32 v144, 0xb482, v96
	v_add_f16_e32 v50, v51, v50
	v_fma_f16 v51, v72, s7, -v127
	v_fma_f16 v145, v66, s14, -v144
	v_add_f16_e32 v50, v51, v50
	v_fma_f16 v51, v24, s14, v128
	v_add_f16_e32 v141, v145, v141
	v_mul_f16_e32 v145, 0x3b47, v100
	v_add_f16_e32 v49, v49, v52
	v_add_f16_e32 v51, v17, v51
	v_fma_f16 v52, v25, s4, v130
	v_fma_f16 v146, v71, s5, -v145
	v_mul_f16_e32 v87, 0xbbeb, v87
	v_add_f16_e32 v51, v52, v51
	v_fma_f16 v52, v26, s6, v131
	v_add_f16_e32 v141, v146, v141
	v_fma_f16 v146, v27, s7, v87
	v_mul_f16_e32 v88, 0x3482, v88
	v_add_f16_e32 v51, v52, v51
	v_fma_f16 v52, v66, s5, v132
	v_add_f16_e32 v146, v47, v146
	v_fma_f16 v147, v28, s14, v88
	;; [unrolled: 5-line block ×3, first 2 shown]
	v_mul_f16_e32 v101, 0xb853, v101
	v_add_f16_e32 v58, v17, v58
	v_add_f16_e32 v51, v52, v51
	v_fma_f16 v52, v27, s6, -v134
	v_add_f16_e32 v146, v147, v146
	v_fma_f16 v147, v70, s4, v101
	v_mul_f16_e32 v102, 0xba0c, v102
	v_add_f16_e32 v58, v58, v60
	v_add_f16_e32 v49, v49, v53
	;; [unrolled: 1-line block ×3, first 2 shown]
	v_fma_f16 v53, v28, s7, -v136
	v_add_f16_e32 v146, v147, v146
	v_fma_f16 v147, v72, s6, v102
	v_mul_f16_e32 v80, 0xbbeb, v80
	v_add_f16_e32 v58, v58, v61
	v_add_f16_e32 v52, v53, v52
	v_fma_f16 v53, v48, s4, -v137
	v_add_f16_e32 v146, v147, v146
	v_fma_f16 v147, v24, s7, -v80
	v_mul_f16_e32 v81, 0x3482, v81
	v_add_f16_e32 v58, v58, v62
	v_add_f16_e32 v52, v53, v52
	v_fma_f16 v53, v70, s14, -v138
	v_mul_f16_e32 v103, 0x3abb, v24
	v_mul_f16_e32 v104, 0x3abb, v27
	;; [unrolled: 1-line block ×4, first 2 shown]
	v_add_f16_e32 v147, v17, v147
	v_fma_f16 v148, v25, s14, -v81
	v_mul_f16_e32 v84, 0x3b47, v84
	v_add_f16_e32 v58, v58, v63
	v_add_f16_e32 v52, v53, v52
	v_fma_f16 v53, v72, s5, -v139
	v_mul_f16_e32 v107, 0x36a6, v25
	v_mul_f16_e32 v108, 0x36a6, v28
	v_mul_f16_e32 v109, 0xb93d, v25
	v_mul_f16_e32 v110, 0xb93d, v28
	v_add_f16_e32 v147, v148, v147
	v_fma_f16 v148, v26, s5, -v84
	v_mul_f16_e32 v96, 0xb853, v96
	v_add_f16_e32 v82, v82, v106
	v_sub_f16_e32 v77, v105, v77
	v_add_f16_e32 v75, v75, v104
	v_sub_f16_e32 v73, v103, v73
	v_add_f16_e32 v58, v58, v64
	v_add_f16_e32 v49, v49, v54
	;; [unrolled: 1-line block ×3, first 2 shown]
	v_fma_f16 v53, v24, s6, v140
	v_fma_f16 v24, v24, s7, v80
	v_mul_f16_e32 v111, 0xb08e, v26
	v_mul_f16_e32 v112, 0xb08e, v48
	;; [unrolled: 1-line block ×4, first 2 shown]
	v_add_f16_e32 v147, v148, v147
	v_fma_f16 v148, v66, s4, -v96
	v_mul_f16_e32 v100, 0xba0c, v100
	v_add_f16_e32 v82, v47, v82
	v_add_f16_e32 v83, v83, v110
	;; [unrolled: 1-line block ×3, first 2 shown]
	v_sub_f16_e32 v78, v109, v78
	v_add_f16_e32 v75, v47, v75
	v_add_f16_e32 v76, v76, v108
	;; [unrolled: 1-line block ×3, first 2 shown]
	v_sub_f16_e32 v74, v107, v74
	v_add_f16_e32 v58, v58, v65
	v_add_f16_e32 v49, v49, v55
	;; [unrolled: 1-line block ×4, first 2 shown]
	v_fma_f16 v24, v25, s14, v81
	v_mul_f16_e32 v115, 0xb93d, v66
	v_mul_f16_e32 v116, 0xb93d, v70
	;; [unrolled: 1-line block ×4, first 2 shown]
	v_add_f16_e32 v147, v148, v147
	v_fma_f16 v148, v71, s6, -v100
	v_add_f16_e32 v82, v83, v82
	v_add_f16_e32 v83, v93, v114
	;; [unrolled: 1-line block ×3, first 2 shown]
	v_sub_f16_e32 v78, v113, v90
	v_add_f16_e32 v75, v76, v75
	v_add_f16_e32 v76, v85, v112
	;; [unrolled: 1-line block ×3, first 2 shown]
	v_sub_f16_e32 v74, v111, v79
	v_add_f16_e32 v58, v58, v67
	v_add_f16_e32 v49, v49, v56
	;; [unrolled: 1-line block ×3, first 2 shown]
	v_fma_f16 v24, v26, s5, v84
	v_mul_f16_e32 v119, 0xbbad, v71
	v_mul_f16_e32 v120, 0xbbad, v72
	v_mul_f16_e32 v121, 0x3abb, v71
	v_add_f16_e32 v147, v148, v147
	v_mul_f16_e32 v148, 0x3abb, v72
	v_add_f16_e32 v82, v83, v82
	v_add_f16_e32 v83, v97, v118
	v_add_f16_e32 v77, v78, v77
	v_sub_f16_e32 v78, v117, v94
	v_add_f16_e32 v75, v76, v75
	v_add_f16_e32 v76, v91, v116
	;; [unrolled: 1-line block ×3, first 2 shown]
	v_sub_f16_e32 v74, v115, v86
	v_add_f16_e32 v58, v58, v68
	v_add_f16_e32 v49, v49, v57
	v_fma_f16 v27, v27, s7, -v87
	v_add_f16_e32 v17, v24, v17
	v_fma_f16 v24, v66, s4, v96
	v_add_f16_e32 v82, v83, v82
	v_add_f16_e32 v83, v99, v148
	;; [unrolled: 1-line block ×3, first 2 shown]
	v_sub_f16_e32 v78, v121, v98
	v_add_f16_e32 v75, v76, v75
	v_add_f16_e32 v76, v95, v120
	v_add_f16_e32 v73, v74, v73
	v_sub_f16_e32 v74, v119, v92
	v_add_f16_e32 v58, v58, v69
	v_add_f16_e32 v49, v49, v59
	v_fma_f16 v54, v25, s7, v142
	v_add_f16_e32 v27, v47, v27
	v_fma_f16 v28, v28, s14, -v88
	v_add_f16_e32 v17, v24, v17
	v_fma_f16 v24, v71, s6, v100
	v_add_f16_e32 v82, v83, v82
	v_add_f16_e32 v77, v78, v77
	;; [unrolled: 1-line block ×5, first 2 shown]
	v_fma_f16 v54, v26, s4, v143
	v_add_f16_e32 v27, v28, v27
	v_fma_f16 v28, v48, s5, -v89
	v_add_f16_e32 v17, v24, v17
	v_pack_b32_f16 v24, v58, v49
	v_add_f16_e32 v53, v54, v53
	v_fma_f16 v54, v66, s14, v144
	v_add_f16_e32 v27, v28, v27
	v_fma_f16 v28, v70, s4, -v101
	ds_write_b32 v30, v24
	v_lshl_add_u32 v24, v38, 2, v40
	v_pack_b32_f16 v25, v73, v75
	v_pack_b32_f16 v26, v77, v82
	v_add_f16_e32 v53, v54, v53
	v_fma_f16 v54, v71, s5, v145
	v_add_f16_e32 v27, v28, v27
	v_fma_f16 v28, v72, s6, -v102
	ds_write2_b32 v24, v25, v26 offset0:9 offset1:18
	v_pack_b32_f16 v25, v147, v146
	v_pack_b32_f16 v26, v141, v135
	v_add_f16_e32 v53, v54, v53
	v_add_f16_e32 v27, v28, v27
	ds_write2_b32 v24, v25, v26 offset0:27 offset1:36
	v_pack_b32_f16 v25, v129, v123
	v_pack_b32_f16 v26, v51, v50
	ds_write2_b32 v24, v25, v26 offset0:45 offset1:54
	v_pack_b32_f16 v25, v53, v52
	v_pack_b32_f16 v17, v17, v27
	s_mov_b32 s4, 0x5040100
	ds_write2_b32 v24, v25, v17 offset0:63 offset1:72
	v_perm_b32 v17, v22, v18, s4
	v_perm_b32 v25, v23, v21, s4
	ds_write2_b32 v24, v17, v25 offset0:81 offset1:90
.LBB0_5:
	s_or_b64 exec, exec, s[0:1]
	s_waitcnt lgkmcnt(0)
	s_barrier
	global_load_dword v17, v[19:20], off offset:396
	s_add_u32 s0, s12, 0x18c
	s_addc_u32 s1, s13, 0
	v_lshlrev_b32_e32 v19, 2, v38
	global_load_dword v28, v19, s[0:1] offset:132
	global_load_dword v49, v19, s[0:1] offset:264
	;; [unrolled: 1-line block ×8, first 2 shown]
	ds_read2_b32 v[19:20], v30 offset1:11
	ds_read2_b32 v[24:25], v30 offset0:22 offset1:33
	ds_read2_b32 v[26:27], v30 offset0:66 offset1:77
	;; [unrolled: 1-line block ×3, first 2 shown]
	ds_read_b32 v56, v30 offset:352
	s_waitcnt lgkmcnt(4)
	v_lshrrev_b32_e32 v57, 16, v19
	s_waitcnt lgkmcnt(3)
	v_lshrrev_b32_e32 v58, 16, v25
	;; [unrolled: 2-line block ×3, first 2 shown]
	v_lshrrev_b32_e32 v60, 16, v20
	s_waitcnt lgkmcnt(1)
	v_lshrrev_b32_e32 v61, 16, v47
	v_lshrrev_b32_e32 v62, 16, v27
	;; [unrolled: 1-line block ×4, first 2 shown]
	s_waitcnt lgkmcnt(0)
	v_lshrrev_b32_e32 v65, 16, v56
	s_movk_i32 s0, 0x3aee
	s_mov_b32 s1, 0xffff
	s_waitcnt vmcnt(5)
	v_mul_f16_sdwa v68, v60, v50 dst_sel:DWORD dst_unused:UNUSED_PAD src0_sel:DWORD src1_sel:WORD_1
	v_mul_f16_sdwa v66, v57, v17 dst_sel:DWORD dst_unused:UNUSED_PAD src0_sel:DWORD src1_sel:WORD_1
	;; [unrolled: 1-line block ×3, first 2 shown]
	v_fma_f16 v19, v19, v17, -v66
	v_fma_f16 v17, v57, v17, v67
	v_pack_b32_f16 v17, v19, v17
	v_mul_f16_sdwa v19, v58, v28 dst_sel:DWORD dst_unused:UNUSED_PAD src0_sel:DWORD src1_sel:WORD_1
	v_mul_f16_sdwa v57, v25, v28 dst_sel:DWORD dst_unused:UNUSED_PAD src0_sel:DWORD src1_sel:WORD_1
	;; [unrolled: 1-line block ×5, first 2 shown]
	s_waitcnt vmcnt(4)
	v_mul_f16_sdwa v70, v61, v51 dst_sel:DWORD dst_unused:UNUSED_PAD src0_sel:DWORD src1_sel:WORD_1
	v_mul_f16_sdwa v71, v47, v51 dst_sel:DWORD dst_unused:UNUSED_PAD src0_sel:DWORD src1_sel:WORD_1
	s_waitcnt vmcnt(3)
	v_mul_f16_sdwa v72, v62, v52 dst_sel:DWORD dst_unused:UNUSED_PAD src0_sel:DWORD src1_sel:WORD_1
	v_mul_f16_sdwa v73, v27, v52 dst_sel:DWORD dst_unused:UNUSED_PAD src0_sel:DWORD src1_sel:WORD_1
	;; [unrolled: 3-line block ×3, first 2 shown]
	v_mul_f16_sdwa v76, v64, v54 dst_sel:DWORD dst_unused:UNUSED_PAD src0_sel:DWORD src1_sel:WORD_1
	v_mul_f16_sdwa v77, v48, v54 dst_sel:DWORD dst_unused:UNUSED_PAD src0_sel:DWORD src1_sel:WORD_1
	;; [unrolled: 1-line block ×4, first 2 shown]
	v_fma_f16 v19, v25, v28, -v19
	v_fma_f16 v25, v58, v28, v57
	v_fma_f16 v26, v26, v49, -v66
	v_fma_f16 v28, v59, v49, v67
	;; [unrolled: 2-line block ×8, first 2 shown]
	v_pack_b32_f16 v19, v19, v25
	v_pack_b32_f16 v25, v26, v28
	;; [unrolled: 1-line block ×8, first 2 shown]
	ds_write2_b32 v30, v17, v20 offset1:11
	ds_write2_b32 v30, v25, v27 offset0:66 offset1:77
	ds_write2_b32 v30, v24, v19 offset0:22 offset1:33
	;; [unrolled: 1-line block ×3, first 2 shown]
	ds_write_b32 v30, v47 offset:352
	s_waitcnt lgkmcnt(0)
	s_barrier
	ds_read2_b32 v[19:20], v30 offset1:11
	ds_read2_b32 v[24:25], v30 offset0:44 offset1:55
	ds_read2_b32 v[26:27], v30 offset0:66 offset1:77
	s_waitcnt lgkmcnt(1)
	v_pk_add_f16 v17, v20, v24
	s_waitcnt lgkmcnt(0)
	v_pk_add_f16 v28, v24, v27
	v_pk_add_f16 v24, v24, v27 neg_lo:[0,1] neg_hi:[0,1]
	v_pk_fma_f16 v20, v28, 0.5, v20 op_sel_hi:[1,0,1] neg_lo:[1,0,0] neg_hi:[1,0,0]
	v_pk_mul_f16 v24, v24, s0 op_sel_hi:[1,0]
	v_pk_add_f16 v17, v17, v27
	v_pk_add_f16 v47, v20, v24 op_sel:[0,1] op_sel_hi:[1,0] neg_lo:[0,1] neg_hi:[0,1]
	v_pk_add_f16 v20, v20, v24 op_sel:[0,1] op_sel_hi:[1,0]
	ds_read2_b32 v[27:28], v30 offset0:22 offset1:33
	ds_read_b32 v24, v30 offset:352
	v_bfi_b32 v48, s1, v47, v20
	v_bfi_b32 v20, s1, v20, v47
	s_waitcnt lgkmcnt(0)
	v_pk_add_f16 v49, v19, v28
	v_pk_add_f16 v49, v49, v26
	;; [unrolled: 1-line block ×3, first 2 shown]
	v_pk_add_f16 v26, v28, v26 neg_lo:[0,1] neg_hi:[0,1]
	v_pk_fma_f16 v19, v50, 0.5, v19 op_sel_hi:[1,0,1] neg_lo:[1,0,0] neg_hi:[1,0,0]
	v_pk_mul_f16 v26, v26, s0 op_sel_hi:[1,0]
	v_pk_add_f16 v28, v19, v26 op_sel:[0,1] op_sel_hi:[1,0] neg_lo:[0,1] neg_hi:[0,1]
	v_pk_add_f16 v19, v19, v26 op_sel:[0,1] op_sel_hi:[1,0]
	v_bfi_b32 v26, s1, v28, v19
	v_bfi_b32 v19, s1, v19, v28
	s_barrier
	ds_write2_b32 v41, v49, v26 offset1:1
	ds_write_b32 v41, v19 offset:8
	ds_write2_b32 v43, v17, v48 offset1:1
	ds_write_b32 v43, v20 offset:8
	v_pk_add_f16 v17, v25, v24
	v_pk_add_f16 v19, v25, v24 neg_lo:[0,1] neg_hi:[0,1]
	v_pk_fma_f16 v17, v17, 0.5, v27 op_sel_hi:[1,0,1] neg_lo:[1,0,0] neg_hi:[1,0,0]
	v_pk_mul_f16 v19, v19, s0 op_sel_hi:[1,0]
	v_pk_add_f16 v47, v27, v25
	v_pk_add_f16 v20, v17, v19 op_sel:[0,1] op_sel_hi:[1,0] neg_lo:[0,1] neg_hi:[0,1]
	v_pk_add_f16 v17, v17, v19 op_sel:[0,1] op_sel_hi:[1,0]
	v_pk_add_f16 v47, v47, v24
	v_bfi_b32 v19, s1, v20, v17
	v_bfi_b32 v17, s1, v17, v20
	ds_write2_b32 v42, v47, v19 offset1:1
	ds_write_b32 v42, v17 offset:8
	s_waitcnt lgkmcnt(0)
	s_barrier
	ds_read2_b32 v[19:20], v30 offset1:11
	ds_read2_b32 v[41:42], v30 offset0:22 offset1:33
	ds_read2_b32 v[24:25], v30 offset0:66 offset1:77
	;; [unrolled: 1-line block ×3, first 2 shown]
	ds_read_b32 v48, v30 offset:352
	s_waitcnt lgkmcnt(4)
	v_lshrrev_b32_e32 v17, 16, v19
	s_waitcnt lgkmcnt(3)
	v_lshrrev_b32_e32 v28, 16, v42
	v_mul_f16_sdwa v54, v13, v28 dst_sel:DWORD dst_unused:UNUSED_PAD src0_sel:WORD_1 src1_sel:DWORD
	s_waitcnt lgkmcnt(2)
	v_lshrrev_b32_e32 v43, 16, v24
	v_fma_f16 v54, v13, v42, v54
	v_mul_f16_sdwa v42, v13, v42 dst_sel:DWORD dst_unused:UNUSED_PAD src0_sel:WORD_1 src1_sel:DWORD
	v_fma_f16 v28, v13, v28, -v42
	v_mul_f16_sdwa v13, v14, v43 dst_sel:DWORD dst_unused:UNUSED_PAD src0_sel:WORD_1 src1_sel:DWORD
	s_waitcnt lgkmcnt(1)
	v_lshrrev_b32_e32 v49, 16, v26
	v_fma_f16 v42, v14, v24, v13
	v_mul_f16_sdwa v13, v14, v24 dst_sel:DWORD dst_unused:UNUSED_PAD src0_sel:WORD_1 src1_sel:DWORD
	v_fma_f16 v14, v14, v43, -v13
	v_mul_f16_sdwa v13, v9, v49 dst_sel:DWORD dst_unused:UNUSED_PAD src0_sel:WORD_1 src1_sel:DWORD
	v_lshrrev_b32_e32 v50, 16, v25
	v_fma_f16 v43, v9, v26, v13
	v_mul_f16_sdwa v13, v9, v26 dst_sel:DWORD dst_unused:UNUSED_PAD src0_sel:WORD_1 src1_sel:DWORD
	v_fma_f16 v26, v9, v49, -v13
	v_mul_f16_sdwa v9, v10, v50 dst_sel:DWORD dst_unused:UNUSED_PAD src0_sel:WORD_1 src1_sel:DWORD
	;; [unrolled: 5-line block ×3, first 2 shown]
	s_waitcnt lgkmcnt(0)
	v_lshrrev_b32_e32 v53, 16, v48
	v_fma_f16 v50, v11, v27, v9
	v_mul_f16_sdwa v9, v11, v27 dst_sel:DWORD dst_unused:UNUSED_PAD src0_sel:WORD_1 src1_sel:DWORD
	v_fma_f16 v52, v11, v52, -v9
	v_mul_f16_sdwa v9, v12, v53 dst_sel:DWORD dst_unused:UNUSED_PAD src0_sel:WORD_1 src1_sel:DWORD
	v_fma_f16 v55, v12, v48, v9
	v_mul_f16_sdwa v9, v12, v48 dst_sel:DWORD dst_unused:UNUSED_PAD src0_sel:WORD_1 src1_sel:DWORD
	v_add_f16_e32 v10, v54, v42
	v_fma_f16 v48, v12, v53, -v9
	v_fma_f16 v11, v10, -0.5, v19
	v_sub_f16_e32 v12, v28, v14
	s_mov_b32 s1, 0xbaee
	v_fma_f16 v10, v12, s1, v11
	v_fma_f16 v13, v12, s0, v11
	v_add_f16_e32 v11, v17, v28
	v_add_f16_e32 v24, v11, v14
	;; [unrolled: 1-line block ×4, first 2 shown]
	v_fma_f16 v11, v11, -0.5, v17
	v_sub_f16_e32 v12, v54, v42
	v_add_f16_e32 v9, v9, v42
	v_fma_f16 v42, v12, s0, v11
	v_fma_f16 v28, v12, s1, v11
	v_add_f16_e32 v11, v20, v43
	v_add_f16_e32 v14, v11, v49
	;; [unrolled: 1-line block ×3, first 2 shown]
	v_lshrrev_b32_e32 v47, 16, v20
	v_fma_f16 v12, v11, -0.5, v20
	v_sub_f16_e32 v17, v26, v25
	v_fma_f16 v11, v17, s1, v12
	v_fma_f16 v12, v17, s0, v12
	v_add_f16_e32 v17, v47, v26
	v_add_f16_e32 v27, v17, v25
	;; [unrolled: 1-line block ×3, first 2 shown]
	v_fma_f16 v17, v17, -0.5, v47
	v_sub_f16_e32 v19, v43, v49
	v_fma_f16 v26, v19, s0, v17
	v_fma_f16 v25, v19, s1, v17
	v_add_f16_e32 v17, v41, v50
	v_add_f16_e32 v19, v17, v55
	;; [unrolled: 1-line block ×3, first 2 shown]
	v_lshrrev_b32_e32 v51, 16, v41
	v_fma_f16 v17, v17, -0.5, v41
	v_sub_f16_e32 v41, v52, v48
	v_fma_f16 v20, v41, s1, v17
	v_fma_f16 v17, v41, s0, v17
	v_add_f16_e32 v41, v51, v52
	v_add_f16_e32 v43, v52, v48
	;; [unrolled: 1-line block ×3, first 2 shown]
	v_fma_f16 v47, v43, -0.5, v51
	v_sub_f16_e32 v48, v50, v55
	v_fma_f16 v43, v48, s0, v47
	v_fma_f16 v47, v48, s1, v47
	v_pack_b32_f16 v48, v9, v24
	v_pack_b32_f16 v49, v10, v42
	s_barrier
	ds_write2_b32 v44, v48, v49 offset1:3
	v_pack_b32_f16 v48, v13, v28
	ds_write_b32 v44, v48 offset:24
	v_pack_b32_f16 v44, v14, v27
	v_pack_b32_f16 v48, v11, v26
	ds_write2_b32 v45, v44, v48 offset1:3
	v_pack_b32_f16 v44, v12, v25
	ds_write_b32 v45, v44 offset:24
	v_pack_b32_f16 v44, v19, v41
	v_pack_b32_f16 v45, v20, v43
	ds_write2_b32 v46, v44, v45 offset1:3
	v_pack_b32_f16 v44, v17, v47
	ds_write_b32 v46, v44 offset:24
	s_waitcnt lgkmcnt(0)
	s_barrier
	s_and_saveexec_b64 s[0:1], vcc
	s_cbranch_execz .LBB0_7
; %bb.6:
	ds_read2_b32 v[9:10], v30 offset1:9
	ds_read2_b32 v[13:14], v30 offset0:18 offset1:27
	ds_read2_b32 v[11:12], v30 offset0:36 offset1:45
	;; [unrolled: 1-line block ×4, first 2 shown]
	ds_read_b32 v21, v30 offset:360
	s_waitcnt lgkmcnt(5)
	v_lshrrev_b32_e32 v24, 16, v9
	v_lshrrev_b32_e32 v42, 16, v10
	s_waitcnt lgkmcnt(4)
	v_lshrrev_b32_e32 v28, 16, v13
	v_lshrrev_b32_e32 v27, 16, v14
	;; [unrolled: 3-line block ×5, first 2 shown]
	s_waitcnt lgkmcnt(0)
	v_lshrrev_b32_e32 v23, 16, v21
.LBB0_7:
	s_or_b64 exec, exec, s[0:1]
	s_and_saveexec_b64 s[0:1], vcc
	s_cbranch_execz .LBB0_9
; %bb.8:
	v_mul_f16_sdwa v45, v0, v10 dst_sel:DWORD dst_unused:UNUSED_PAD src0_sel:WORD_1 src1_sel:DWORD
	v_fma_f16 v45, v0, v42, -v45
	v_mul_f16_sdwa v42, v0, v42 dst_sel:DWORD dst_unused:UNUSED_PAD src0_sel:WORD_1 src1_sel:DWORD
	v_mul_f16_sdwa v44, v16, v21 dst_sel:DWORD dst_unused:UNUSED_PAD src0_sel:WORD_1 src1_sel:DWORD
	v_fma_f16 v0, v0, v10, v42
	v_mul_f16_sdwa v42, v1, v13 dst_sel:DWORD dst_unused:UNUSED_PAD src0_sel:WORD_1 src1_sel:DWORD
	v_fma_f16 v44, v16, v23, -v44
	v_mul_f16_sdwa v10, v16, v23 dst_sel:DWORD dst_unused:UNUSED_PAD src0_sel:WORD_1 src1_sel:DWORD
	v_mul_f16_sdwa v23, v15, v18 dst_sel:DWORD dst_unused:UNUSED_PAD src0_sel:WORD_1 src1_sel:DWORD
	v_fma_f16 v42, v1, v28, -v42
	v_mul_f16_sdwa v28, v1, v28 dst_sel:DWORD dst_unused:UNUSED_PAD src0_sel:WORD_1 src1_sel:DWORD
	v_add_f16_e32 v46, v44, v45
	v_fma_f16 v10, v16, v21, v10
	v_fma_f16 v23, v15, v22, -v23
	v_fma_f16 v1, v1, v13, v28
	v_mul_f16_sdwa v13, v15, v22 dst_sel:DWORD dst_unused:UNUSED_PAD src0_sel:WORD_1 src1_sel:DWORD
	v_mul_f16_e32 v48, 0xbbad, v46
	v_sub_f16_e32 v16, v0, v10
	s_movk_i32 s12, 0x3482
	v_add_f16_e32 v49, v23, v42
	v_fma_f16 v13, v15, v18, v13
	v_fma_f16 v21, v16, s12, v48
	v_mul_f16_e32 v50, 0x3abb, v49
	v_sub_f16_e32 v15, v1, v13
	s_mov_b32 s7, 0xb853
	v_add_f16_e32 v21, v24, v21
	v_fma_f16 v18, v15, s7, v50
	v_mul_f16_sdwa v22, v2, v14 dst_sel:DWORD dst_unused:UNUSED_PAD src0_sel:WORD_1 src1_sel:DWORD
	v_add_f16_e32 v18, v18, v21
	v_mul_f16_sdwa v21, v7, v17 dst_sel:DWORD dst_unused:UNUSED_PAD src0_sel:WORD_1 src1_sel:DWORD
	v_fma_f16 v22, v2, v27, -v22
	v_mul_f16_sdwa v27, v2, v27 dst_sel:DWORD dst_unused:UNUSED_PAD src0_sel:WORD_1 src1_sel:DWORD
	v_fma_f16 v21, v7, v47, -v21
	v_fma_f16 v2, v2, v14, v27
	v_mul_f16_sdwa v14, v7, v47 dst_sel:DWORD dst_unused:UNUSED_PAD src0_sel:WORD_1 src1_sel:DWORD
	v_add_f16_e32 v28, v21, v22
	v_fma_f16 v7, v7, v17, v14
	v_mul_f16_e32 v51, 0xb93d, v28
	v_sub_f16_e32 v14, v2, v7
	s_movk_i32 s21, 0x3a0c
	v_fma_f16 v17, v14, s21, v51
	v_mul_f16_sdwa v27, v3, v11 dst_sel:DWORD dst_unused:UNUSED_PAD src0_sel:WORD_1 src1_sel:DWORD
	v_add_f16_e32 v17, v17, v18
	v_mul_f16_sdwa v18, v6, v20 dst_sel:DWORD dst_unused:UNUSED_PAD src0_sel:WORD_1 src1_sel:DWORD
	v_fma_f16 v27, v3, v26, -v27
	v_mul_f16_sdwa v26, v3, v26 dst_sel:DWORD dst_unused:UNUSED_PAD src0_sel:WORD_1 src1_sel:DWORD
	v_fma_f16 v18, v6, v43, -v18
	v_fma_f16 v3, v3, v11, v26
	v_mul_f16_sdwa v11, v6, v43 dst_sel:DWORD dst_unused:UNUSED_PAD src0_sel:WORD_1 src1_sel:DWORD
	v_add_f16_e32 v47, v18, v27
	v_fma_f16 v6, v6, v20, v11
	v_mul_f16_e32 v52, 0x36a6, v47
	v_sub_f16_e32 v11, v3, v6
	s_mov_b32 s15, 0xbb47
	v_fma_f16 v20, v11, s15, v52
	v_mul_f16_sdwa v26, v4, v12 dst_sel:DWORD dst_unused:UNUSED_PAD src0_sel:WORD_1 src1_sel:DWORD
	v_add_f16_e32 v17, v20, v17
	v_mul_f16_sdwa v20, v5, v19 dst_sel:DWORD dst_unused:UNUSED_PAD src0_sel:WORD_1 src1_sel:DWORD
	v_fma_f16 v26, v4, v25, -v26
	v_mul_f16_sdwa v25, v4, v25 dst_sel:DWORD dst_unused:UNUSED_PAD src0_sel:WORD_1 src1_sel:DWORD
	v_fma_f16 v20, v5, v41, -v20
	v_fma_f16 v4, v4, v12, v25
	v_mul_f16_sdwa v12, v5, v41 dst_sel:DWORD dst_unused:UNUSED_PAD src0_sel:WORD_1 src1_sel:DWORD
	v_add_f16_e32 v43, v20, v26
	v_fma_f16 v5, v5, v19, v12
	v_mul_f16_e32 v53, 0xb08e, v43
	v_sub_f16_e32 v12, v4, v5
	s_movk_i32 s18, 0x3beb
	v_fma_f16 v19, v12, s18, v53
	v_sub_f16_e32 v25, v45, v44
	s_mov_b32 s4, 0xbbad
	v_add_f16_e32 v17, v19, v17
	v_add_f16_e32 v19, v10, v0
	v_mul_f16_e32 v41, 0xb482, v25
	v_sub_f16_e32 v56, v42, v23
	s_movk_i32 s5, 0x3abb
	v_fma_f16 v54, v19, s4, v41
	v_add_f16_e32 v55, v13, v1
	v_mul_f16_e32 v57, 0x3853, v56
	v_add_f16_e32 v54, v9, v54
	v_fma_f16 v58, v55, s5, v57
	v_sub_f16_e32 v59, v22, v21
	v_add_f16_e32 v54, v58, v54
	v_add_f16_e32 v58, v7, v2
	v_mul_f16_e32 v60, 0xba0c, v59
	v_fma_f16 v61, v58, s6, v60
	v_sub_f16_e32 v62, v27, v18
	s_movk_i32 s13, 0x36a6
	v_add_f16_e32 v54, v61, v54
	v_add_f16_e32 v61, v6, v3
	v_mul_f16_e32 v63, 0x3b47, v62
	v_fma_f16 v64, v61, s13, v63
	v_sub_f16_e32 v65, v26, v20
	s_mov_b32 s14, 0xb08e
	v_add_f16_e32 v54, v64, v54
	v_add_f16_e32 v64, v5, v4
	v_mul_f16_e32 v66, 0xbbeb, v65
	v_fma_f16 v67, v64, s14, v66
	v_add_f16_e32 v54, v67, v54
	v_mul_f16_e32 v67, 0xb93d, v46
	s_mov_b32 s20, 0xbbeb
	v_fma_f16 v68, v16, s21, v67
	v_mul_f16_e32 v69, 0xb08e, v49
	v_add_f16_e32 v68, v24, v68
	v_fma_f16 v70, v15, s20, v69
	s_movk_i32 s19, 0x3853
	v_add_f16_e32 v68, v70, v68
	v_mul_f16_e32 v70, 0x3abb, v28
	v_fma_f16 v71, v14, s19, v70
	v_add_f16_e32 v68, v71, v68
	v_mul_f16_e32 v71, 0xbbad, v47
	v_fma_f16 v72, v11, s12, v71
	v_add_f16_e32 v68, v72, v68
	v_mul_f16_e32 v72, 0x36a6, v43
	v_fma_f16 v73, v12, s15, v72
	v_add_f16_e32 v68, v73, v68
	v_mul_f16_e32 v73, 0xba0c, v25
	v_fma_f16 v74, v19, s6, v73
	v_mul_f16_e32 v75, 0x3beb, v56
	v_add_f16_e32 v74, v9, v74
	v_fma_f16 v76, v55, s14, v75
	v_add_f16_e32 v74, v76, v74
	v_mul_f16_e32 v76, 0xb853, v59
	v_fma_f16 v77, v58, s5, v76
	v_add_f16_e32 v74, v77, v74
	v_mul_f16_e32 v77, 0xb482, v62
	;; [unrolled: 3-line block ×4, first 2 shown]
	s_mov_b32 s16, 0xb482
	v_fma_f16 v80, v16, s18, v79
	v_mul_f16_e32 v81, 0xbbad, v49
	v_add_f16_e32 v80, v24, v80
	v_fma_f16 v82, v15, s16, v81
	v_add_f16_e32 v80, v82, v80
	v_mul_f16_e32 v82, 0x36a6, v28
	v_fma_f16 v83, v14, s15, v82
	v_add_f16_e32 v80, v83, v80
	v_mul_f16_e32 v83, 0x3abb, v47
	v_add_f16_e32 v0, v9, v0
	v_fma_f16 v84, v11, s19, v83
	v_add_f16_e32 v0, v1, v0
	v_add_f16_e32 v80, v84, v80
	v_mul_f16_e32 v84, 0xb93d, v43
	v_add_f16_e32 v0, v2, v0
	v_fma_f16 v2, v16, s16, v48
	s_mov_b32 s17, 0xba0c
	v_fma_f16 v85, v12, s21, v84
	v_add_f16_e32 v0, v3, v0
	v_add_f16_e32 v2, v24, v2
	v_fma_f16 v3, v15, s19, v50
	s_movk_i32 s22, 0x3b47
	v_add_f16_e32 v80, v85, v80
	v_mul_f16_e32 v85, 0xbbeb, v25
	v_add_f16_e32 v2, v3, v2
	v_fma_f16 v3, v14, s17, v51
	v_fma_f16 v86, v19, s14, v85
	v_mul_f16_e32 v87, 0x3482, v56
	v_add_f16_e32 v2, v3, v2
	v_fma_f16 v3, v11, s22, v52
	v_add_f16_e32 v86, v9, v86
	v_fma_f16 v88, v55, s4, v87
	;; [unrolled: 2-line block ×3, first 2 shown]
	v_add_f16_e32 v86, v88, v86
	v_mul_f16_e32 v88, 0x3b47, v59
	v_add_f16_e32 v2, v3, v2
	v_fma_f16 v3, v19, s4, -v41
	v_fma_f16 v89, v58, s13, v88
	v_add_f16_e32 v0, v4, v0
	v_add_f16_e32 v3, v9, v3
	v_fma_f16 v4, v55, s5, -v57
	v_add_f16_e32 v86, v89, v86
	v_mul_f16_e32 v89, 0xb853, v62
	v_add_f16_e32 v3, v4, v3
	v_fma_f16 v4, v58, s6, -v60
	v_fma_f16 v90, v61, s5, v89
	v_add_f16_e32 v3, v4, v3
	v_fma_f16 v4, v61, s13, -v63
	v_add_f16_e32 v86, v90, v86
	v_mul_f16_e32 v90, 0xba0c, v65
	v_add_f16_e32 v3, v4, v3
	v_fma_f16 v4, v64, s14, -v66
	v_fma_f16 v91, v64, s6, v90
	v_add_f16_e32 v3, v4, v3
	v_fma_f16 v4, v16, s17, v67
	v_add_f16_e32 v86, v91, v86
	v_mul_f16_e32 v91, 0x36a6, v46
	v_add_f16_e32 v0, v5, v0
	v_add_f16_e32 v4, v24, v4
	v_fma_f16 v5, v15, s18, v69
	v_fma_f16 v92, v16, s22, v91
	v_mul_f16_e32 v93, 0xb93d, v49
	v_add_f16_e32 v4, v5, v4
	v_fma_f16 v5, v14, s7, v70
	v_add_f16_e32 v92, v24, v92
	v_fma_f16 v94, v15, s21, v93
	;; [unrolled: 2-line block ×3, first 2 shown]
	v_add_f16_e32 v92, v94, v92
	v_mul_f16_e32 v94, 0xbbad, v28
	v_add_f16_e32 v4, v5, v4
	v_fma_f16 v5, v12, s22, v72
	v_fma_f16 v95, v14, s16, v94
	v_add_f16_e32 v4, v5, v4
	v_fma_f16 v5, v19, s6, -v73
	v_add_f16_e32 v92, v95, v92
	v_mul_f16_e32 v95, 0xb08e, v47
	v_add_f16_e32 v0, v6, v0
	v_add_f16_e32 v5, v9, v5
	v_fma_f16 v6, v55, s14, -v75
	v_fma_f16 v96, v11, s20, v95
	v_add_f16_e32 v5, v6, v5
	v_fma_f16 v6, v58, s5, -v76
	v_add_f16_e32 v92, v96, v92
	v_mul_f16_e32 v96, 0x3abb, v43
	v_add_f16_e32 v5, v6, v5
	v_fma_f16 v6, v61, s4, -v77
	v_fma_f16 v97, v12, s7, v96
	v_add_f16_e32 v5, v6, v5
	v_fma_f16 v6, v64, s13, -v78
	v_add_f16_e32 v92, v97, v92
	v_mul_f16_e32 v97, 0xbb47, v25
	v_add_f16_e32 v5, v6, v5
	v_fma_f16 v6, v16, s20, v79
	v_fma_f16 v98, v19, s13, v97
	v_mul_f16_e32 v99, 0xba0c, v56
	v_add_f16_e32 v0, v7, v0
	v_add_f16_e32 v6, v24, v6
	v_fma_f16 v7, v15, s12, v81
	v_add_f16_e32 v98, v9, v98
	v_fma_f16 v100, v55, s6, v99
	;; [unrolled: 2-line block ×3, first 2 shown]
	v_add_f16_e32 v98, v100, v98
	v_mul_f16_e32 v100, 0x3482, v59
	v_add_f16_e32 v6, v7, v6
	v_fma_f16 v7, v11, s7, v83
	v_fma_f16 v101, v58, s4, v100
	v_add_f16_e32 v6, v7, v6
	v_fma_f16 v7, v12, s17, v84
	v_add_f16_e32 v98, v101, v98
	v_mul_f16_e32 v101, 0x3beb, v62
	v_add_f16_e32 v0, v13, v0
	v_add_f16_e32 v6, v7, v6
	v_fma_f16 v7, v19, s14, -v85
	v_fma_f16 v102, v61, s14, v101
	v_add_f16_e32 v0, v10, v0
	v_add_f16_e32 v7, v9, v7
	v_fma_f16 v10, v55, s4, -v87
	v_add_f16_e32 v98, v102, v98
	v_mul_f16_e32 v102, 0x3853, v65
	v_add_f16_e32 v7, v10, v7
	v_fma_f16 v10, v58, s13, -v88
	v_fma_f16 v103, v64, s5, v102
	v_mul_f16_e32 v46, 0x3abb, v46
	v_add_f16_e32 v7, v10, v7
	v_fma_f16 v10, v61, s5, -v89
	v_add_f16_e32 v98, v103, v98
	v_fma_f16 v103, v16, s19, v46
	v_mul_f16_e32 v49, 0x36a6, v49
	v_add_f16_e32 v1, v45, v24
	v_add_f16_e32 v7, v10, v7
	v_fma_f16 v10, v64, s6, -v90
	v_add_f16_e32 v103, v24, v103
	v_fma_f16 v104, v15, s22, v49
	v_mul_f16_e32 v28, 0xb08e, v28
	v_add_f16_e32 v1, v42, v1
	v_add_f16_e32 v7, v10, v7
	v_fma_f16 v10, v16, s15, v91
	v_fma_f16 v16, v16, s7, v46
	v_add_f16_e32 v103, v104, v103
	v_fma_f16 v104, v14, s18, v28
	v_mul_f16_e32 v47, 0xb93d, v47
	v_add_f16_e32 v1, v22, v1
	v_add_f16_e32 v10, v24, v10
	v_fma_f16 v13, v15, s17, v93
	v_add_f16_e32 v16, v24, v16
	v_fma_f16 v15, v15, s15, v49
	v_add_f16_e32 v103, v104, v103
	v_fma_f16 v104, v11, s21, v47
	v_mul_f16_e32 v43, 0xbbad, v43
	v_add_f16_e32 v1, v27, v1
	v_add_f16_e32 v10, v13, v10
	v_fma_f16 v13, v14, s12, v94
	v_add_f16_e32 v15, v15, v16
	;; [unrolled: 8-line block ×4, first 2 shown]
	v_fma_f16 v12, v12, s16, v43
	v_add_f16_e32 v104, v9, v104
	v_fma_f16 v105, v55, s13, v56
	v_mul_f16_e32 v59, 0xbbeb, v59
	v_add_f16_e32 v1, v18, v1
	v_add_f16_e32 v10, v13, v10
	v_fma_f16 v13, v19, s13, -v97
	v_add_f16_e32 v11, v12, v11
	v_fma_f16 v12, v19, s5, -v25
	v_add_f16_e32 v104, v105, v104
	v_fma_f16 v105, v58, s14, v59
	v_mul_f16_e32 v62, 0xba0c, v62
	v_add_f16_e32 v1, v21, v1
	v_add_f16_e32 v13, v9, v13
	;; [unrolled: 1-line block ×3, first 2 shown]
	v_fma_f16 v12, v55, s13, -v56
	v_add_f16_e32 v104, v105, v104
	v_fma_f16 v105, v61, s6, v62
	v_mul_f16_e32 v65, 0xb482, v65
	v_add_f16_e32 v1, v23, v1
	v_add_f16_e32 v9, v12, v9
	v_fma_f16 v12, v58, s14, -v59
	v_add_f16_e32 v104, v105, v104
	v_fma_f16 v105, v64, s4, v65
	v_add_f16_e32 v1, v44, v1
	v_add_f16_e32 v9, v12, v9
	v_fma_f16 v12, v61, s6, -v62
	v_add_f16_e32 v104, v105, v104
	v_fma_f16 v18, v55, s6, -v99
	;; [unrolled: 2-line block ×3, first 2 shown]
	v_pack_b32_f16 v0, v0, v1
	v_add_f16_e32 v13, v18, v13
	v_fma_f16 v18, v58, s4, -v100
	v_add_f16_e32 v9, v12, v9
	ds_write_b32 v30, v0
	v_lshl_add_u32 v0, v38, 2, v40
	v_pack_b32_f16 v1, v104, v103
	v_pack_b32_f16 v12, v98, v92
	v_add_f16_e32 v13, v18, v13
	v_fma_f16 v18, v61, s14, -v101
	ds_write2_b32 v0, v1, v12 offset0:9 offset1:18
	v_pack_b32_f16 v1, v86, v80
	v_pack_b32_f16 v12, v74, v68
	v_add_f16_e32 v13, v18, v13
	v_fma_f16 v18, v64, s5, -v102
	ds_write2_b32 v0, v1, v12 offset0:27 offset1:36
	v_pack_b32_f16 v1, v54, v17
	v_pack_b32_f16 v2, v3, v2
	v_add_f16_e32 v13, v18, v13
	ds_write2_b32 v0, v1, v2 offset0:45 offset1:54
	v_pack_b32_f16 v1, v5, v4
	v_pack_b32_f16 v2, v7, v6
	ds_write2_b32 v0, v1, v2 offset0:63 offset1:72
	v_pack_b32_f16 v1, v13, v10
	v_pack_b32_f16 v2, v9, v11
	ds_write2_b32 v0, v1, v2 offset0:81 offset1:90
.LBB0_9:
	s_or_b64 exec, exec, s[0:1]
	s_waitcnt lgkmcnt(0)
	s_barrier
	ds_read2_b32 v[2:3], v30 offset1:11
	s_mov_b32 s4, 0xa052bf5b
	s_mov_b32 s5, 0x3f84afd6
	v_mad_u64_u32 v[4:5], s[0:1], s10, v8, 0
	s_waitcnt lgkmcnt(0)
	v_lshrrev_b32_e32 v7, 16, v2
	v_mul_f16_sdwa v0, v39, v7 dst_sel:DWORD dst_unused:UNUSED_PAD src0_sel:WORD_1 src1_sel:DWORD
	v_fma_f16 v0, v39, v2, v0
	v_cvt_f32_f16_e32 v0, v0
	s_movk_i32 s6, 0x1ff
	v_mad_u64_u32 v[5:6], s[0:1], s11, v8, v[5:6]
	v_cvt_f64_f32_e32 v[0:1], v0
	s_movk_i32 s7, 0xffe
	v_mul_f16_sdwa v2, v39, v2 dst_sel:DWORD dst_unused:UNUSED_PAD src0_sel:WORD_1 src1_sel:DWORD
	v_fma_f16 v2, v39, v7, -v2
	v_mul_f64 v[0:1], v[0:1], s[4:5]
	v_cvt_f32_f16_e32 v7, v2
	v_mov_b32_e32 v2, 0x7c00
	s_movk_i32 s10, 0x40f
	s_mov_b32 s11, 0x8000
	v_lshlrev_b64 v[4:5], 2, v[4:5]
	v_and_or_b32 v0, v1, s6, v0
	v_cmp_ne_u32_e32 vcc, 0, v0
	v_lshrrev_b32_e32 v6, 8, v1
	v_bfe_u32 v8, v1, 20, 11
	v_cndmask_b32_e64 v0, 0, 1, vcc
	v_and_or_b32 v0, v6, s7, v0
	v_sub_u32_e32 v9, 0x3f1, v8
	v_or_b32_e32 v6, 0x1000, v0
	v_med3_i32 v9, v9, 0, 13
	v_lshrrev_b32_e32 v10, v9, v6
	v_lshlrev_b32_e32 v9, v9, v10
	v_cmp_ne_u32_e32 vcc, v9, v6
	v_cndmask_b32_e64 v6, 0, 1, vcc
	v_add_u32_e32 v8, 0xfffffc10, v8
	v_or_b32_e32 v6, v10, v6
	v_lshl_or_b32 v9, v8, 12, v0
	v_cmp_gt_i32_e32 vcc, 1, v8
	v_cndmask_b32_e32 v6, v9, v6, vcc
	v_and_b32_e32 v9, 7, v6
	v_cmp_lt_i32_e32 vcc, 5, v9
	v_cmp_eq_u32_e64 s[0:1], 3, v9
	v_lshrrev_b32_e32 v6, 2, v6
	s_or_b64 vcc, s[0:1], vcc
	v_addc_co_u32_e32 v9, vcc, 0, v6, vcc
	v_cvt_f64_f32_e32 v[6:7], v7
	v_cmp_gt_i32_e32 vcc, 31, v8
	v_cndmask_b32_e32 v9, v2, v9, vcc
	v_cmp_ne_u32_e32 vcc, 0, v0
	v_mul_f64 v[6:7], v[6:7], s[4:5]
	v_cndmask_b32_e64 v0, 0, 1, vcc
	v_lshl_or_b32 v0, v0, 9, v2
	v_cmp_eq_u32_e32 vcc, s10, v8
	v_cndmask_b32_e32 v0, v9, v0, vcc
	v_lshrrev_b32_e32 v1, 16, v1
	v_and_or_b32 v10, v1, s11, v0
	v_and_b32_e32 v10, 0xffff, v10
	v_and_or_b32 v0, v7, s6, v6
	v_cmp_ne_u32_e32 vcc, 0, v0
	v_cndmask_b32_e64 v0, 0, 1, vcc
	v_lshrrev_b32_e32 v1, 8, v7
	v_bfe_u32 v6, v7, 20, 11
	v_and_or_b32 v0, v1, s7, v0
	v_sub_u32_e32 v8, 0x3f1, v6
	v_or_b32_e32 v1, 0x1000, v0
	v_med3_i32 v8, v8, 0, 13
	v_lshrrev_b32_e32 v9, v8, v1
	v_lshlrev_b32_e32 v8, v8, v9
	v_cmp_ne_u32_e32 vcc, v8, v1
	v_cndmask_b32_e64 v1, 0, 1, vcc
	v_add_u32_e32 v6, 0xfffffc10, v6
	v_or_b32_e32 v1, v9, v1
	v_lshl_or_b32 v8, v6, 12, v0
	v_cmp_gt_i32_e32 vcc, 1, v6
	v_cndmask_b32_e32 v1, v8, v1, vcc
	v_and_b32_e32 v8, 7, v1
	v_cmp_lt_i32_e32 vcc, 5, v8
	v_cmp_eq_u32_e64 s[0:1], 3, v8
	v_lshrrev_b32_e32 v1, 2, v1
	s_or_b64 vcc, s[0:1], vcc
	v_addc_co_u32_e32 v1, vcc, 0, v1, vcc
	v_cmp_gt_i32_e32 vcc, 31, v6
	v_cndmask_b32_e32 v1, v2, v1, vcc
	v_cmp_ne_u32_e32 vcc, 0, v0
	v_cndmask_b32_e64 v0, 0, 1, vcc
	v_lshl_or_b32 v0, v0, 9, v2
	v_cmp_eq_u32_e32 vcc, s10, v6
	v_cndmask_b32_e32 v6, v1, v0, vcc
	v_mad_u64_u32 v[8:9], s[0:1], s8, v38, 0
	ds_read2_b32 v[0:1], v30 offset0:22 offset1:33
	v_lshrrev_b32_e32 v7, 16, v7
	v_and_or_b32 v11, v7, s11, v6
	v_mov_b32_e32 v6, v9
	v_mad_u64_u32 v[6:7], s[0:1], s9, v38, v[6:7]
	s_waitcnt lgkmcnt(0)
	v_lshrrev_b32_e32 v12, 16, v1
	v_mul_f16_sdwa v7, v37, v12 dst_sel:DWORD dst_unused:UNUSED_PAD src0_sel:WORD_1 src1_sel:DWORD
	v_fma_f16 v7, v37, v1, v7
	v_cvt_f32_f16_e32 v7, v7
	v_mov_b32_e32 v9, v6
	v_lshl_or_b32 v10, v11, 16, v10
	v_mov_b32_e32 v11, s3
	v_cvt_f64_f32_e32 v[6:7], v7
	v_add_co_u32_e32 v13, vcc, s2, v4
	v_addc_co_u32_e32 v11, vcc, v11, v5, vcc
	v_mul_f64 v[6:7], v[6:7], s[4:5]
	v_lshlrev_b64 v[4:5], 2, v[8:9]
	v_mul_f16_sdwa v1, v37, v1 dst_sel:DWORD dst_unused:UNUSED_PAD src0_sel:WORD_1 src1_sel:DWORD
	v_add_co_u32_e32 v4, vcc, v13, v4
	v_addc_co_u32_e32 v5, vcc, v11, v5, vcc
	global_store_dword v[4:5], v10, off
	v_and_or_b32 v6, v7, s6, v6
	v_cmp_ne_u32_e32 vcc, 0, v6
	v_cndmask_b32_e64 v6, 0, 1, vcc
	v_lshrrev_b32_e32 v8, 8, v7
	v_bfe_u32 v9, v7, 20, 11
	v_and_or_b32 v6, v8, s7, v6
	v_sub_u32_e32 v10, 0x3f1, v9
	v_or_b32_e32 v8, 0x1000, v6
	v_med3_i32 v10, v10, 0, 13
	v_lshrrev_b32_e32 v11, v10, v8
	v_lshlrev_b32_e32 v10, v10, v11
	v_cmp_ne_u32_e32 vcc, v10, v8
	v_fma_f16 v1, v37, v12, -v1
	v_cndmask_b32_e64 v8, 0, 1, vcc
	v_add_u32_e32 v10, 0xfffffc10, v9
	v_cvt_f32_f16_e32 v1, v1
	v_or_b32_e32 v8, v11, v8
	v_lshl_or_b32 v9, v10, 12, v6
	v_cmp_gt_i32_e32 vcc, 1, v10
	v_cndmask_b32_e32 v8, v9, v8, vcc
	v_and_b32_e32 v9, 7, v8
	v_cmp_lt_i32_e32 vcc, 5, v9
	v_cmp_eq_u32_e64 s[0:1], 3, v9
	v_lshrrev_b32_e32 v11, 2, v8
	v_cvt_f64_f32_e32 v[8:9], v1
	s_or_b64 vcc, s[0:1], vcc
	v_addc_co_u32_e32 v1, vcc, 0, v11, vcc
	v_mul_f64 v[8:9], v[8:9], s[4:5]
	v_cmp_gt_i32_e32 vcc, 31, v10
	v_cndmask_b32_e32 v1, v2, v1, vcc
	v_cmp_ne_u32_e32 vcc, 0, v6
	v_cndmask_b32_e64 v6, 0, 1, vcc
	v_lshl_or_b32 v6, v6, 9, v2
	v_cmp_eq_u32_e32 vcc, s10, v10
	v_cndmask_b32_e32 v1, v1, v6, vcc
	v_lshrrev_b32_e32 v6, 16, v7
	v_and_or_b32 v1, v6, s11, v1
	v_and_or_b32 v6, v9, s6, v8
	v_cmp_ne_u32_e32 vcc, 0, v6
	v_cndmask_b32_e64 v6, 0, 1, vcc
	v_lshrrev_b32_e32 v7, 8, v9
	v_bfe_u32 v8, v9, 20, 11
	v_and_or_b32 v6, v7, s7, v6
	v_sub_u32_e32 v10, 0x3f1, v8
	v_or_b32_e32 v7, 0x1000, v6
	v_med3_i32 v10, v10, 0, 13
	v_lshrrev_b32_e32 v11, v10, v7
	v_lshlrev_b32_e32 v10, v10, v11
	v_cmp_ne_u32_e32 vcc, v10, v7
	v_cndmask_b32_e64 v7, 0, 1, vcc
	v_add_u32_e32 v8, 0xfffffc10, v8
	v_or_b32_e32 v7, v11, v7
	v_lshl_or_b32 v10, v8, 12, v6
	v_cmp_gt_i32_e32 vcc, 1, v8
	v_cndmask_b32_e32 v7, v10, v7, vcc
	v_and_b32_e32 v10, 7, v7
	v_cmp_lt_i32_e32 vcc, 5, v10
	v_cmp_eq_u32_e64 s[0:1], 3, v10
	v_lshrrev_b32_e32 v7, 2, v7
	s_or_b64 vcc, s[0:1], vcc
	v_addc_co_u32_e32 v7, vcc, 0, v7, vcc
	v_cmp_gt_i32_e32 vcc, 31, v8
	v_cndmask_b32_e32 v10, v2, v7, vcc
	v_cmp_ne_u32_e32 vcc, 0, v6
	ds_read2_b32 v[6:7], v30 offset0:66 offset1:77
	v_cndmask_b32_e64 v11, 0, 1, vcc
	v_lshl_or_b32 v11, v11, 9, v2
	v_cmp_eq_u32_e32 vcc, s10, v8
	v_cndmask_b32_e32 v8, v10, v11, vcc
	s_waitcnt lgkmcnt(0)
	v_lshrrev_b32_e32 v10, 16, v6
	v_mul_f16_sdwa v11, v36, v10 dst_sel:DWORD dst_unused:UNUSED_PAD src0_sel:WORD_1 src1_sel:DWORD
	v_fma_f16 v11, v36, v6, v11
	v_cvt_f32_f16_e32 v11, v11
	v_lshrrev_b32_e32 v9, 16, v9
	v_and_or_b32 v8, v9, s11, v8
	v_and_b32_e32 v1, 0xffff, v1
	v_lshl_or_b32 v1, v8, 16, v1
	v_cvt_f64_f32_e32 v[8:9], v11
	s_mul_i32 s0, s9, 0x84
	s_mul_hi_u32 s2, s8, 0x84
	s_add_i32 s2, s2, s0
	v_mul_f64 v[8:9], v[8:9], s[4:5]
	s_mul_i32 s3, s8, 0x84
	v_mov_b32_e32 v11, s2
	v_add_co_u32_e32 v4, vcc, s3, v4
	v_addc_co_u32_e32 v5, vcc, v5, v11, vcc
	global_store_dword v[4:5], v1, off
	v_and_or_b32 v1, v9, s6, v8
	v_cmp_ne_u32_e32 vcc, 0, v1
	v_cndmask_b32_e64 v1, 0, 1, vcc
	v_lshrrev_b32_e32 v8, 8, v9
	v_bfe_u32 v11, v9, 20, 11
	v_and_or_b32 v1, v8, s7, v1
	v_sub_u32_e32 v12, 0x3f1, v11
	v_or_b32_e32 v8, 0x1000, v1
	v_med3_i32 v12, v12, 0, 13
	v_lshrrev_b32_e32 v13, v12, v8
	v_lshlrev_b32_e32 v12, v12, v13
	v_mul_f16_sdwa v6, v36, v6 dst_sel:DWORD dst_unused:UNUSED_PAD src0_sel:WORD_1 src1_sel:DWORD
	v_cmp_ne_u32_e32 vcc, v12, v8
	v_fma_f16 v6, v36, v10, -v6
	v_cndmask_b32_e64 v8, 0, 1, vcc
	v_add_u32_e32 v12, 0xfffffc10, v11
	v_cvt_f32_f16_e32 v6, v6
	v_or_b32_e32 v8, v13, v8
	v_lshl_or_b32 v11, v12, 12, v1
	v_cmp_gt_i32_e32 vcc, 1, v12
	v_cndmask_b32_e32 v8, v11, v8, vcc
	v_and_b32_e32 v11, 7, v8
	v_cmp_lt_i32_e32 vcc, 5, v11
	v_cmp_eq_u32_e64 s[0:1], 3, v11
	v_cvt_f64_f32_e32 v[10:11], v6
	v_lshrrev_b32_e32 v8, 2, v8
	s_or_b64 vcc, s[0:1], vcc
	v_addc_co_u32_e32 v6, vcc, 0, v8, vcc
	v_mul_f64 v[10:11], v[10:11], s[4:5]
	v_cmp_gt_i32_e32 vcc, 31, v12
	v_cndmask_b32_e32 v6, v2, v6, vcc
	v_cmp_ne_u32_e32 vcc, 0, v1
	v_cndmask_b32_e64 v1, 0, 1, vcc
	v_lshl_or_b32 v1, v1, 9, v2
	v_cmp_eq_u32_e32 vcc, s10, v12
	v_cndmask_b32_e32 v1, v6, v1, vcc
	v_lshrrev_b32_e32 v6, 16, v9
	v_and_or_b32 v1, v6, s11, v1
	v_and_or_b32 v6, v11, s6, v10
	v_cmp_ne_u32_e32 vcc, 0, v6
	v_cndmask_b32_e64 v6, 0, 1, vcc
	v_lshrrev_b32_e32 v8, 8, v11
	v_bfe_u32 v9, v11, 20, 11
	v_and_or_b32 v6, v8, s7, v6
	v_sub_u32_e32 v10, 0x3f1, v9
	v_or_b32_e32 v8, 0x1000, v6
	v_med3_i32 v10, v10, 0, 13
	v_lshrrev_b32_e32 v12, v10, v8
	v_lshlrev_b32_e32 v10, v10, v12
	v_cmp_ne_u32_e32 vcc, v10, v8
	v_cndmask_b32_e64 v8, 0, 1, vcc
	v_add_u32_e32 v9, 0xfffffc10, v9
	v_or_b32_e32 v8, v12, v8
	v_lshl_or_b32 v10, v9, 12, v6
	v_cmp_gt_i32_e32 vcc, 1, v9
	v_cndmask_b32_e32 v8, v10, v8, vcc
	v_and_b32_e32 v10, 7, v8
	v_cmp_lt_i32_e32 vcc, 5, v10
	v_cmp_eq_u32_e64 s[0:1], 3, v10
	v_lshrrev_b32_e32 v10, 16, v3
	v_lshrrev_b32_e32 v8, 2, v8
	s_or_b64 vcc, s[0:1], vcc
	v_mul_f16_sdwa v12, v35, v10 dst_sel:DWORD dst_unused:UNUSED_PAD src0_sel:WORD_1 src1_sel:DWORD
	v_addc_co_u32_e32 v8, vcc, 0, v8, vcc
	v_fma_f16 v12, v35, v3, v12
	v_cmp_gt_i32_e32 vcc, 31, v9
	v_cvt_f32_f16_e32 v12, v12
	v_cndmask_b32_e32 v8, v2, v8, vcc
	v_cmp_ne_u32_e32 vcc, 0, v6
	v_cndmask_b32_e64 v6, 0, 1, vcc
	v_lshl_or_b32 v6, v6, 9, v2
	v_cmp_eq_u32_e32 vcc, s10, v9
	v_cndmask_b32_e32 v6, v8, v6, vcc
	v_cvt_f64_f32_e32 v[8:9], v12
	v_lshrrev_b32_e32 v11, 16, v11
	v_and_or_b32 v6, v11, s11, v6
	v_and_b32_e32 v1, 0xffff, v1
	v_mul_f64 v[8:9], v[8:9], s[4:5]
	v_lshl_or_b32 v1, v6, 16, v1
	v_mov_b32_e32 v6, s2
	v_add_co_u32_e32 v4, vcc, s3, v4
	v_addc_co_u32_e32 v5, vcc, v5, v6, vcc
	global_store_dword v[4:5], v1, off
	v_and_or_b32 v1, v9, s6, v8
	v_cmp_ne_u32_e32 vcc, 0, v1
	v_cndmask_b32_e64 v1, 0, 1, vcc
	v_lshrrev_b32_e32 v6, 8, v9
	v_bfe_u32 v8, v9, 20, 11
	v_and_or_b32 v1, v6, s7, v1
	v_sub_u32_e32 v11, 0x3f1, v8
	v_or_b32_e32 v6, 0x1000, v1
	v_med3_i32 v11, v11, 0, 13
	v_lshrrev_b32_e32 v12, v11, v6
	v_lshlrev_b32_e32 v11, v11, v12
	v_mul_f16_sdwa v3, v35, v3 dst_sel:DWORD dst_unused:UNUSED_PAD src0_sel:WORD_1 src1_sel:DWORD
	v_cmp_ne_u32_e32 vcc, v11, v6
	v_fma_f16 v3, v35, v10, -v3
	v_cndmask_b32_e64 v6, 0, 1, vcc
	v_add_u32_e32 v8, 0xfffffc10, v8
	v_cvt_f32_f16_e32 v3, v3
	v_or_b32_e32 v6, v12, v6
	v_lshl_or_b32 v11, v8, 12, v1
	v_cmp_gt_i32_e32 vcc, 1, v8
	v_cndmask_b32_e32 v6, v11, v6, vcc
	v_and_b32_e32 v11, 7, v6
	v_cmp_lt_i32_e32 vcc, 5, v11
	v_cmp_eq_u32_e64 s[0:1], 3, v11
	v_cvt_f64_f32_e32 v[10:11], v3
	v_lshrrev_b32_e32 v6, 2, v6
	s_or_b64 vcc, s[0:1], vcc
	v_addc_co_u32_e32 v3, vcc, 0, v6, vcc
	v_mul_f64 v[10:11], v[10:11], s[4:5]
	v_cmp_gt_i32_e32 vcc, 31, v8
	v_cndmask_b32_e32 v3, v2, v3, vcc
	v_cmp_ne_u32_e32 vcc, 0, v1
	v_cndmask_b32_e64 v1, 0, 1, vcc
	v_lshl_or_b32 v1, v1, 9, v2
	v_cmp_eq_u32_e32 vcc, s10, v8
	v_cndmask_b32_e32 v1, v3, v1, vcc
	v_lshrrev_b32_e32 v3, 16, v9
	v_and_or_b32 v1, v3, s11, v1
	v_and_or_b32 v3, v11, s6, v10
	v_cmp_ne_u32_e32 vcc, 0, v3
	v_cndmask_b32_e64 v3, 0, 1, vcc
	v_lshrrev_b32_e32 v6, 8, v11
	v_bfe_u32 v8, v11, 20, 11
	v_and_or_b32 v3, v6, s7, v3
	v_sub_u32_e32 v9, 0x3f1, v8
	v_or_b32_e32 v6, 0x1000, v3
	v_med3_i32 v9, v9, 0, 13
	v_lshrrev_b32_e32 v10, v9, v6
	v_lshlrev_b32_e32 v9, v9, v10
	v_cmp_ne_u32_e32 vcc, v9, v6
	v_cndmask_b32_e64 v6, 0, 1, vcc
	v_or_b32_e32 v6, v10, v6
	v_add_u32_e32 v10, 0xfffffc10, v8
	v_lshl_or_b32 v8, v10, 12, v3
	v_cmp_gt_i32_e32 vcc, 1, v10
	v_cndmask_b32_e32 v6, v8, v6, vcc
	v_and_b32_e32 v8, 7, v6
	v_cmp_lt_i32_e32 vcc, 5, v8
	v_cmp_eq_u32_e64 s[0:1], 3, v8
	ds_read2_b32 v[8:9], v30 offset0:44 offset1:55
	v_lshrrev_b32_e32 v6, 2, v6
	s_or_b64 vcc, s[0:1], vcc
	v_addc_co_u32_e32 v6, vcc, 0, v6, vcc
	s_waitcnt lgkmcnt(0)
	v_lshrrev_b32_e32 v12, 16, v8
	v_mul_f16_sdwa v13, v34, v12 dst_sel:DWORD dst_unused:UNUSED_PAD src0_sel:WORD_1 src1_sel:DWORD
	v_fma_f16 v13, v34, v8, v13
	v_cmp_gt_i32_e32 vcc, 31, v10
	v_cvt_f32_f16_e32 v13, v13
	v_cndmask_b32_e32 v6, v2, v6, vcc
	v_cmp_ne_u32_e32 vcc, 0, v3
	v_cndmask_b32_e64 v3, 0, 1, vcc
	v_lshl_or_b32 v3, v3, 9, v2
	v_cmp_eq_u32_e32 vcc, s10, v10
	v_cndmask_b32_e32 v3, v6, v3, vcc
	v_lshrrev_b32_e32 v6, 16, v11
	v_cvt_f64_f32_e32 v[10:11], v13
	v_mov_b32_e32 v13, 0xffffff24
	v_and_or_b32 v6, v6, s11, v3
	v_mad_u64_u32 v[3:4], s[0:1], s8, v13, v[4:5]
	v_mul_f64 v[10:11], v[10:11], s[4:5]
	s_mul_i32 s0, s9, 0xffffff24
	v_and_b32_e32 v1, 0xffff, v1
	s_sub_i32 s9, s0, s8
	v_lshl_or_b32 v1, v6, 16, v1
	v_add_u32_e32 v4, s9, v4
	global_store_dword v[3:4], v1, off
	v_mul_f16_sdwa v8, v34, v8 dst_sel:DWORD dst_unused:UNUSED_PAD src0_sel:WORD_1 src1_sel:DWORD
	v_and_or_b32 v1, v11, s6, v10
	v_cmp_ne_u32_e32 vcc, 0, v1
	v_cndmask_b32_e64 v1, 0, 1, vcc
	v_lshrrev_b32_e32 v5, 8, v11
	v_bfe_u32 v6, v11, 20, 11
	v_and_or_b32 v1, v5, s7, v1
	v_sub_u32_e32 v10, 0x3f1, v6
	v_or_b32_e32 v5, 0x1000, v1
	v_med3_i32 v10, v10, 0, 13
	v_lshrrev_b32_e32 v14, v10, v5
	v_lshlrev_b32_e32 v10, v10, v14
	v_cmp_ne_u32_e32 vcc, v10, v5
	v_fma_f16 v8, v34, v12, -v8
	v_cndmask_b32_e64 v5, 0, 1, vcc
	v_add_u32_e32 v10, 0xfffffc10, v6
	v_cvt_f32_f16_e32 v8, v8
	v_or_b32_e32 v5, v14, v5
	v_lshl_or_b32 v6, v10, 12, v1
	v_cmp_gt_i32_e32 vcc, 1, v10
	v_cndmask_b32_e32 v5, v6, v5, vcc
	v_and_b32_e32 v6, 7, v5
	v_cmp_lt_i32_e32 vcc, 5, v6
	v_cmp_eq_u32_e64 s[0:1], 3, v6
	v_lshrrev_b32_e32 v12, 2, v5
	v_cvt_f64_f32_e32 v[5:6], v8
	s_or_b64 vcc, s[0:1], vcc
	v_addc_co_u32_e32 v8, vcc, 0, v12, vcc
	v_mul_f64 v[5:6], v[5:6], s[4:5]
	v_cmp_gt_i32_e32 vcc, 31, v10
	v_cndmask_b32_e32 v8, v2, v8, vcc
	v_cmp_ne_u32_e32 vcc, 0, v1
	v_cndmask_b32_e64 v1, 0, 1, vcc
	v_lshl_or_b32 v1, v1, 9, v2
	v_cmp_eq_u32_e32 vcc, s10, v10
	v_cndmask_b32_e32 v1, v8, v1, vcc
	v_and_or_b32 v5, v6, s6, v5
	v_lshrrev_b32_e32 v8, 16, v11
	v_cmp_ne_u32_e32 vcc, 0, v5
	v_and_or_b32 v1, v8, s11, v1
	v_cndmask_b32_e64 v5, 0, 1, vcc
	v_lshrrev_b32_e32 v8, 8, v6
	v_bfe_u32 v10, v6, 20, 11
	v_and_or_b32 v5, v8, s7, v5
	v_sub_u32_e32 v11, 0x3f1, v10
	v_or_b32_e32 v8, 0x1000, v5
	v_med3_i32 v11, v11, 0, 13
	v_lshrrev_b32_e32 v12, v11, v8
	v_lshlrev_b32_e32 v11, v11, v12
	v_cmp_ne_u32_e32 vcc, v11, v8
	v_cndmask_b32_e64 v8, 0, 1, vcc
	v_add_u32_e32 v10, 0xfffffc10, v10
	v_or_b32_e32 v8, v12, v8
	v_lshl_or_b32 v11, v10, 12, v5
	v_cmp_gt_i32_e32 vcc, 1, v10
	v_cndmask_b32_e32 v8, v11, v8, vcc
	v_and_b32_e32 v11, 7, v8
	v_lshrrev_b32_e32 v12, 16, v7
	v_cmp_lt_i32_e32 vcc, 5, v11
	v_cmp_eq_u32_e64 s[0:1], 3, v11
	v_mul_f16_sdwa v11, v33, v12 dst_sel:DWORD dst_unused:UNUSED_PAD src0_sel:WORD_1 src1_sel:DWORD
	v_fma_f16 v11, v33, v7, v11
	v_lshrrev_b32_e32 v8, 2, v8
	s_or_b64 vcc, s[0:1], vcc
	v_cvt_f32_f16_e32 v11, v11
	v_addc_co_u32_e32 v8, vcc, 0, v8, vcc
	v_cmp_gt_i32_e32 vcc, 31, v10
	v_cndmask_b32_e32 v8, v2, v8, vcc
	v_cmp_ne_u32_e32 vcc, 0, v5
	v_cndmask_b32_e64 v5, 0, 1, vcc
	v_cmp_eq_u32_e32 vcc, s10, v10
	v_cvt_f64_f32_e32 v[10:11], v11
	v_lshl_or_b32 v5, v5, 9, v2
	v_cndmask_b32_e32 v5, v8, v5, vcc
	v_lshrrev_b32_e32 v6, 16, v6
	v_and_or_b32 v8, v6, s11, v5
	v_mul_f64 v[5:6], v[10:11], s[4:5]
	v_and_b32_e32 v1, 0xffff, v1
	v_lshl_or_b32 v1, v8, 16, v1
	v_mov_b32_e32 v8, s2
	v_add_co_u32_e32 v3, vcc, s3, v3
	v_addc_co_u32_e32 v4, vcc, v4, v8, vcc
	global_store_dword v[3:4], v1, off
	v_and_or_b32 v1, v6, s6, v5
	v_cmp_ne_u32_e32 vcc, 0, v1
	v_cndmask_b32_e64 v1, 0, 1, vcc
	v_lshrrev_b32_e32 v5, 8, v6
	v_bfe_u32 v8, v6, 20, 11
	v_and_or_b32 v1, v5, s7, v1
	v_sub_u32_e32 v10, 0x3f1, v8
	v_or_b32_e32 v5, 0x1000, v1
	v_med3_i32 v10, v10, 0, 13
	v_lshrrev_b32_e32 v11, v10, v5
	v_lshlrev_b32_e32 v10, v10, v11
	v_mul_f16_sdwa v7, v33, v7 dst_sel:DWORD dst_unused:UNUSED_PAD src0_sel:WORD_1 src1_sel:DWORD
	v_cmp_ne_u32_e32 vcc, v10, v5
	v_fma_f16 v7, v33, v12, -v7
	v_cndmask_b32_e64 v5, 0, 1, vcc
	v_add_u32_e32 v10, 0xfffffc10, v8
	v_cvt_f32_f16_e32 v7, v7
	v_or_b32_e32 v5, v11, v5
	v_lshl_or_b32 v8, v10, 12, v1
	v_cmp_gt_i32_e32 vcc, 1, v10
	v_cndmask_b32_e32 v5, v8, v5, vcc
	v_and_b32_e32 v8, 7, v5
	v_cmp_lt_i32_e32 vcc, 5, v8
	v_cmp_eq_u32_e64 s[0:1], 3, v8
	v_cvt_f64_f32_e32 v[7:8], v7
	v_lshrrev_b32_e32 v5, 2, v5
	s_or_b64 vcc, s[0:1], vcc
	v_addc_co_u32_e32 v5, vcc, 0, v5, vcc
	v_mul_f64 v[7:8], v[7:8], s[4:5]
	v_cmp_gt_i32_e32 vcc, 31, v10
	v_cndmask_b32_e32 v5, v2, v5, vcc
	v_cmp_ne_u32_e32 vcc, 0, v1
	v_cndmask_b32_e64 v1, 0, 1, vcc
	v_lshl_or_b32 v1, v1, 9, v2
	v_cmp_eq_u32_e32 vcc, s10, v10
	v_cndmask_b32_e32 v1, v5, v1, vcc
	v_lshrrev_b32_e32 v5, 16, v6
	v_and_or_b32 v1, v5, s11, v1
	v_and_or_b32 v5, v8, s6, v7
	v_cmp_ne_u32_e32 vcc, 0, v5
	v_cndmask_b32_e64 v5, 0, 1, vcc
	v_lshrrev_b32_e32 v6, 8, v8
	v_bfe_u32 v7, v8, 20, 11
	v_and_or_b32 v5, v6, s7, v5
	v_sub_u32_e32 v10, 0x3f1, v7
	v_or_b32_e32 v6, 0x1000, v5
	v_med3_i32 v10, v10, 0, 13
	v_lshrrev_b32_e32 v11, v10, v6
	v_lshlrev_b32_e32 v10, v10, v11
	v_cmp_ne_u32_e32 vcc, v10, v6
	v_cndmask_b32_e64 v6, 0, 1, vcc
	v_add_u32_e32 v7, 0xfffffc10, v7
	v_or_b32_e32 v6, v11, v6
	v_lshl_or_b32 v10, v7, 12, v5
	v_cmp_gt_i32_e32 vcc, 1, v7
	v_cndmask_b32_e32 v6, v10, v6, vcc
	v_and_b32_e32 v10, 7, v6
	v_cmp_lt_i32_e32 vcc, 5, v10
	v_cmp_eq_u32_e64 s[0:1], 3, v10
	v_lshrrev_b32_e32 v10, 16, v0
	v_lshrrev_b32_e32 v6, 2, v6
	s_or_b64 vcc, s[0:1], vcc
	v_mul_f16_sdwa v11, v32, v10 dst_sel:DWORD dst_unused:UNUSED_PAD src0_sel:WORD_1 src1_sel:DWORD
	v_addc_co_u32_e32 v6, vcc, 0, v6, vcc
	v_fma_f16 v11, v32, v0, v11
	v_cmp_gt_i32_e32 vcc, 31, v7
	v_cvt_f32_f16_e32 v11, v11
	v_cndmask_b32_e32 v6, v2, v6, vcc
	v_cmp_ne_u32_e32 vcc, 0, v5
	v_cndmask_b32_e64 v5, 0, 1, vcc
	v_lshl_or_b32 v5, v5, 9, v2
	v_cmp_eq_u32_e32 vcc, s10, v7
	v_cndmask_b32_e32 v7, v6, v5, vcc
	v_cvt_f64_f32_e32 v[5:6], v11
	v_lshrrev_b32_e32 v8, 16, v8
	v_and_or_b32 v7, v8, s11, v7
	v_and_b32_e32 v1, 0xffff, v1
	v_mul_f64 v[5:6], v[5:6], s[4:5]
	v_lshl_or_b32 v1, v7, 16, v1
	v_mov_b32_e32 v7, s2
	v_add_co_u32_e32 v3, vcc, s3, v3
	v_addc_co_u32_e32 v4, vcc, v4, v7, vcc
	global_store_dword v[3:4], v1, off
	v_and_or_b32 v1, v6, s6, v5
	v_cmp_ne_u32_e32 vcc, 0, v1
	v_cndmask_b32_e64 v1, 0, 1, vcc
	v_lshrrev_b32_e32 v5, 8, v6
	v_bfe_u32 v7, v6, 20, 11
	v_and_or_b32 v5, v5, s7, v1
	v_sub_u32_e32 v8, 0x3f1, v7
	v_or_b32_e32 v1, 0x1000, v5
	v_med3_i32 v8, v8, 0, 13
	v_lshrrev_b32_e32 v11, v8, v1
	v_lshlrev_b32_e32 v8, v8, v11
	v_mul_f16_sdwa v0, v32, v0 dst_sel:DWORD dst_unused:UNUSED_PAD src0_sel:WORD_1 src1_sel:DWORD
	v_cmp_ne_u32_e32 vcc, v8, v1
	v_fma_f16 v0, v32, v10, -v0
	v_cndmask_b32_e64 v1, 0, 1, vcc
	v_add_u32_e32 v7, 0xfffffc10, v7
	v_cvt_f32_f16_e32 v0, v0
	v_or_b32_e32 v1, v11, v1
	v_lshl_or_b32 v8, v7, 12, v5
	v_cmp_gt_i32_e32 vcc, 1, v7
	v_cndmask_b32_e32 v1, v8, v1, vcc
	v_and_b32_e32 v8, 7, v1
	v_cmp_lt_i32_e32 vcc, 5, v8
	v_cmp_eq_u32_e64 s[0:1], 3, v8
	v_lshrrev_b32_e32 v8, 2, v1
	v_cvt_f64_f32_e32 v[0:1], v0
	s_or_b64 vcc, s[0:1], vcc
	v_addc_co_u32_e32 v8, vcc, 0, v8, vcc
	v_mul_f64 v[0:1], v[0:1], s[4:5]
	v_cmp_gt_i32_e32 vcc, 31, v7
	v_cndmask_b32_e32 v8, v2, v8, vcc
	v_cmp_ne_u32_e32 vcc, 0, v5
	v_cndmask_b32_e64 v5, 0, 1, vcc
	v_lshl_or_b32 v5, v5, 9, v2
	v_cmp_eq_u32_e32 vcc, s10, v7
	v_cndmask_b32_e32 v5, v8, v5, vcc
	v_and_or_b32 v0, v1, s6, v0
	v_lshrrev_b32_e32 v6, 16, v6
	v_cmp_ne_u32_e32 vcc, 0, v0
	v_and_or_b32 v7, v6, s11, v5
	v_cndmask_b32_e64 v0, 0, 1, vcc
	v_lshrrev_b32_e32 v5, 8, v1
	v_bfe_u32 v6, v1, 20, 11
	v_and_or_b32 v0, v5, s7, v0
	v_sub_u32_e32 v8, 0x3f1, v6
	v_or_b32_e32 v5, 0x1000, v0
	v_med3_i32 v8, v8, 0, 13
	v_lshrrev_b32_e32 v10, v8, v5
	v_lshlrev_b32_e32 v8, v8, v10
	v_cmp_ne_u32_e32 vcc, v8, v5
	v_cndmask_b32_e64 v5, 0, 1, vcc
	v_add_u32_e32 v8, 0xfffffc10, v6
	v_or_b32_e32 v5, v10, v5
	v_lshl_or_b32 v6, v8, 12, v0
	v_cmp_gt_i32_e32 vcc, 1, v8
	v_cndmask_b32_e32 v5, v6, v5, vcc
	v_and_b32_e32 v6, 7, v5
	v_cmp_lt_i32_e32 vcc, 5, v6
	v_cmp_eq_u32_e64 s[0:1], 3, v6
	v_lshrrev_b32_e32 v5, 2, v5
	s_or_b64 vcc, s[0:1], vcc
	v_addc_co_u32_e32 v5, vcc, 0, v5, vcc
	v_cmp_gt_i32_e32 vcc, 31, v8
	v_lshrrev_b32_e32 v11, 16, v9
	v_cndmask_b32_e32 v10, v2, v5, vcc
	v_mul_f16_sdwa v5, v31, v11 dst_sel:DWORD dst_unused:UNUSED_PAD src0_sel:WORD_1 src1_sel:DWORD
	v_fma_f16 v5, v31, v9, v5
	v_cvt_f32_f16_e32 v5, v5
	v_cmp_ne_u32_e32 vcc, 0, v0
	v_cndmask_b32_e64 v0, 0, 1, vcc
	v_lshl_or_b32 v0, v0, 9, v2
	v_cvt_f64_f32_e32 v[5:6], v5
	v_cmp_eq_u32_e32 vcc, s10, v8
	v_cndmask_b32_e32 v8, v10, v0, vcc
	v_lshrrev_b32_e32 v10, 16, v1
	v_mul_f64 v[0:1], v[5:6], s[4:5]
	v_mad_u64_u32 v[3:4], s[0:1], s8, v13, v[3:4]
	v_and_or_b32 v5, v10, s11, v8
	v_and_b32_e32 v6, 0xffff, v7
	v_lshl_or_b32 v5, v5, 16, v6
	v_add_u32_e32 v4, s9, v4
	global_store_dword v[3:4], v5, off
	v_and_or_b32 v0, v1, s6, v0
	v_cmp_ne_u32_e32 vcc, 0, v0
	v_cndmask_b32_e64 v0, 0, 1, vcc
	v_lshrrev_b32_e32 v5, 8, v1
	v_bfe_u32 v6, v1, 20, 11
	v_and_or_b32 v0, v5, s7, v0
	v_sub_u32_e32 v7, 0x3f1, v6
	v_or_b32_e32 v5, 0x1000, v0
	v_med3_i32 v7, v7, 0, 13
	v_lshrrev_b32_e32 v8, v7, v5
	v_lshlrev_b32_e32 v7, v7, v8
	v_cmp_ne_u32_e32 vcc, v7, v5
	v_cndmask_b32_e64 v5, 0, 1, vcc
	v_or_b32_e32 v5, v8, v5
	v_mul_f16_sdwa v8, v31, v9 dst_sel:DWORD dst_unused:UNUSED_PAD src0_sel:WORD_1 src1_sel:DWORD
	v_fma_f16 v8, v31, v11, -v8
	v_add_u32_e32 v7, 0xfffffc10, v6
	v_cvt_f32_f16_e32 v8, v8
	v_lshl_or_b32 v6, v7, 12, v0
	v_cmp_gt_i32_e32 vcc, 1, v7
	v_cndmask_b32_e32 v5, v6, v5, vcc
	v_and_b32_e32 v6, 7, v5
	v_cmp_lt_i32_e32 vcc, 5, v6
	v_cmp_eq_u32_e64 s[0:1], 3, v6
	v_lshrrev_b32_e32 v9, 2, v5
	v_cvt_f64_f32_e32 v[5:6], v8
	s_or_b64 vcc, s[0:1], vcc
	v_addc_co_u32_e32 v8, vcc, 0, v9, vcc
	v_mul_f64 v[5:6], v[5:6], s[4:5]
	v_cmp_gt_i32_e32 vcc, 31, v7
	v_cndmask_b32_e32 v8, v2, v8, vcc
	v_cmp_ne_u32_e32 vcc, 0, v0
	v_cndmask_b32_e64 v0, 0, 1, vcc
	v_lshl_or_b32 v0, v0, 9, v2
	v_cmp_eq_u32_e32 vcc, s10, v7
	v_cndmask_b32_e32 v0, v8, v0, vcc
	v_lshrrev_b32_e32 v1, 16, v1
	v_and_or_b32 v7, v1, s11, v0
	v_and_or_b32 v0, v6, s6, v5
	v_cmp_ne_u32_e32 vcc, 0, v0
	v_cndmask_b32_e64 v0, 0, 1, vcc
	v_lshrrev_b32_e32 v1, 8, v6
	v_bfe_u32 v5, v6, 20, 11
	v_and_or_b32 v0, v1, s7, v0
	v_sub_u32_e32 v8, 0x3f1, v5
	v_or_b32_e32 v1, 0x1000, v0
	v_med3_i32 v8, v8, 0, 13
	v_lshrrev_b32_e32 v9, v8, v1
	v_lshlrev_b32_e32 v8, v8, v9
	v_cmp_ne_u32_e32 vcc, v8, v1
	v_cndmask_b32_e64 v1, 0, 1, vcc
	v_add_u32_e32 v5, 0xfffffc10, v5
	v_or_b32_e32 v1, v9, v1
	v_lshl_or_b32 v8, v5, 12, v0
	v_cmp_gt_i32_e32 vcc, 1, v5
	v_cndmask_b32_e32 v1, v8, v1, vcc
	v_and_b32_e32 v8, 7, v1
	v_cmp_lt_i32_e32 vcc, 5, v8
	v_cmp_eq_u32_e64 s[0:1], 3, v8
	ds_read_b32 v8, v30 offset:352
	v_lshrrev_b32_e32 v1, 2, v1
	s_or_b64 vcc, s[0:1], vcc
	v_addc_co_u32_e32 v1, vcc, 0, v1, vcc
	s_waitcnt lgkmcnt(0)
	v_lshrrev_b32_e32 v9, 16, v8
	v_mul_f16_sdwa v10, v29, v9 dst_sel:DWORD dst_unused:UNUSED_PAD src0_sel:WORD_1 src1_sel:DWORD
	v_fma_f16 v10, v29, v8, v10
	v_cmp_gt_i32_e32 vcc, 31, v5
	v_cvt_f32_f16_e32 v10, v10
	v_cndmask_b32_e32 v1, v2, v1, vcc
	v_cmp_ne_u32_e32 vcc, 0, v0
	v_cndmask_b32_e64 v0, 0, 1, vcc
	v_lshl_or_b32 v0, v0, 9, v2
	v_cmp_eq_u32_e32 vcc, s10, v5
	v_cndmask_b32_e32 v5, v1, v0, vcc
	v_cvt_f64_f32_e32 v[0:1], v10
	v_lshrrev_b32_e32 v6, 16, v6
	v_and_or_b32 v5, v6, s11, v5
	v_and_b32_e32 v6, 0xffff, v7
	v_mul_f64 v[0:1], v[0:1], s[4:5]
	v_lshl_or_b32 v5, v5, 16, v6
	v_mov_b32_e32 v6, s2
	v_add_co_u32_e32 v3, vcc, s3, v3
	v_addc_co_u32_e32 v4, vcc, v4, v6, vcc
	global_store_dword v[3:4], v5, off
	v_and_or_b32 v0, v1, s6, v0
	v_cmp_ne_u32_e32 vcc, 0, v0
	v_cndmask_b32_e64 v0, 0, 1, vcc
	v_lshrrev_b32_e32 v5, 8, v1
	v_bfe_u32 v6, v1, 20, 11
	v_and_or_b32 v0, v5, s7, v0
	v_sub_u32_e32 v7, 0x3f1, v6
	v_or_b32_e32 v5, 0x1000, v0
	v_med3_i32 v7, v7, 0, 13
	v_lshrrev_b32_e32 v10, v7, v5
	v_lshlrev_b32_e32 v7, v7, v10
	v_mul_f16_sdwa v8, v29, v8 dst_sel:DWORD dst_unused:UNUSED_PAD src0_sel:WORD_1 src1_sel:DWORD
	v_cmp_ne_u32_e32 vcc, v7, v5
	v_fma_f16 v8, v29, v9, -v8
	v_cndmask_b32_e64 v5, 0, 1, vcc
	v_add_u32_e32 v7, 0xfffffc10, v6
	v_cvt_f32_f16_e32 v8, v8
	v_or_b32_e32 v5, v10, v5
	v_lshl_or_b32 v6, v7, 12, v0
	v_cmp_gt_i32_e32 vcc, 1, v7
	v_cndmask_b32_e32 v5, v6, v5, vcc
	v_and_b32_e32 v6, 7, v5
	v_cmp_lt_i32_e32 vcc, 5, v6
	v_cmp_eq_u32_e64 s[0:1], 3, v6
	v_lshrrev_b32_e32 v9, 2, v5
	v_cvt_f64_f32_e32 v[5:6], v8
	s_or_b64 vcc, s[0:1], vcc
	v_addc_co_u32_e32 v8, vcc, 0, v9, vcc
	v_mul_f64 v[5:6], v[5:6], s[4:5]
	v_cmp_gt_i32_e32 vcc, 31, v7
	v_cndmask_b32_e32 v8, v2, v8, vcc
	v_cmp_ne_u32_e32 vcc, 0, v0
	v_cndmask_b32_e64 v0, 0, 1, vcc
	v_lshl_or_b32 v0, v0, 9, v2
	v_cmp_eq_u32_e32 vcc, s10, v7
	v_cndmask_b32_e32 v0, v8, v0, vcc
	v_lshrrev_b32_e32 v1, 16, v1
	v_and_or_b32 v0, v1, s11, v0
	v_and_or_b32 v1, v6, s6, v5
	v_cmp_ne_u32_e32 vcc, 0, v1
	v_cndmask_b32_e64 v1, 0, 1, vcc
	v_lshrrev_b32_e32 v5, 8, v6
	v_bfe_u32 v7, v6, 20, 11
	v_and_or_b32 v1, v5, s7, v1
	v_sub_u32_e32 v8, 0x3f1, v7
	v_or_b32_e32 v5, 0x1000, v1
	v_med3_i32 v8, v8, 0, 13
	v_lshrrev_b32_e32 v9, v8, v5
	v_lshlrev_b32_e32 v8, v8, v9
	v_cmp_ne_u32_e32 vcc, v8, v5
	v_cndmask_b32_e64 v5, 0, 1, vcc
	v_add_u32_e32 v7, 0xfffffc10, v7
	v_or_b32_e32 v5, v9, v5
	v_lshl_or_b32 v8, v7, 12, v1
	v_cmp_gt_i32_e32 vcc, 1, v7
	v_cndmask_b32_e32 v5, v8, v5, vcc
	v_and_b32_e32 v8, 7, v5
	v_cmp_lt_i32_e32 vcc, 5, v8
	v_cmp_eq_u32_e64 s[0:1], 3, v8
	v_lshrrev_b32_e32 v5, 2, v5
	s_or_b64 vcc, s[0:1], vcc
	v_addc_co_u32_e32 v5, vcc, 0, v5, vcc
	v_cmp_gt_i32_e32 vcc, 31, v7
	v_cndmask_b32_e32 v5, v2, v5, vcc
	v_cmp_ne_u32_e32 vcc, 0, v1
	v_cndmask_b32_e64 v1, 0, 1, vcc
	v_lshl_or_b32 v1, v1, 9, v2
	v_cmp_eq_u32_e32 vcc, s10, v7
	v_cndmask_b32_e32 v1, v5, v1, vcc
	v_lshrrev_b32_e32 v2, 16, v6
	v_and_or_b32 v1, v2, s11, v1
	v_and_b32_e32 v0, 0xffff, v0
	v_lshl_or_b32 v2, v1, 16, v0
	v_mov_b32_e32 v1, s2
	v_add_co_u32_e32 v0, vcc, s3, v3
	v_addc_co_u32_e32 v1, vcc, v4, v1, vcc
	global_store_dword v[0:1], v2, off
.LBB0_10:
	s_endpgm
	.section	.rodata,"a",@progbits
	.p2align	6, 0x0
	.amdhsa_kernel bluestein_single_fwd_len99_dim1_half_op_CI_CI
		.amdhsa_group_segment_fixed_size 7920
		.amdhsa_private_segment_fixed_size 0
		.amdhsa_kernarg_size 104
		.amdhsa_user_sgpr_count 6
		.amdhsa_user_sgpr_private_segment_buffer 1
		.amdhsa_user_sgpr_dispatch_ptr 0
		.amdhsa_user_sgpr_queue_ptr 0
		.amdhsa_user_sgpr_kernarg_segment_ptr 1
		.amdhsa_user_sgpr_dispatch_id 0
		.amdhsa_user_sgpr_flat_scratch_init 0
		.amdhsa_user_sgpr_private_segment_size 0
		.amdhsa_uses_dynamic_stack 0
		.amdhsa_system_sgpr_private_segment_wavefront_offset 0
		.amdhsa_system_sgpr_workgroup_id_x 1
		.amdhsa_system_sgpr_workgroup_id_y 0
		.amdhsa_system_sgpr_workgroup_id_z 0
		.amdhsa_system_sgpr_workgroup_info 0
		.amdhsa_system_vgpr_workitem_id 0
		.amdhsa_next_free_vgpr 149
		.amdhsa_next_free_sgpr 23
		.amdhsa_reserve_vcc 1
		.amdhsa_reserve_flat_scratch 0
		.amdhsa_float_round_mode_32 0
		.amdhsa_float_round_mode_16_64 0
		.amdhsa_float_denorm_mode_32 3
		.amdhsa_float_denorm_mode_16_64 3
		.amdhsa_dx10_clamp 1
		.amdhsa_ieee_mode 1
		.amdhsa_fp16_overflow 0
		.amdhsa_exception_fp_ieee_invalid_op 0
		.amdhsa_exception_fp_denorm_src 0
		.amdhsa_exception_fp_ieee_div_zero 0
		.amdhsa_exception_fp_ieee_overflow 0
		.amdhsa_exception_fp_ieee_underflow 0
		.amdhsa_exception_fp_ieee_inexact 0
		.amdhsa_exception_int_div_zero 0
	.end_amdhsa_kernel
	.text
.Lfunc_end0:
	.size	bluestein_single_fwd_len99_dim1_half_op_CI_CI, .Lfunc_end0-bluestein_single_fwd_len99_dim1_half_op_CI_CI
                                        ; -- End function
	.section	.AMDGPU.csdata,"",@progbits
; Kernel info:
; codeLenInByte = 13524
; NumSgprs: 27
; NumVgprs: 149
; ScratchSize: 0
; MemoryBound: 0
; FloatMode: 240
; IeeeMode: 1
; LDSByteSize: 7920 bytes/workgroup (compile time only)
; SGPRBlocks: 3
; VGPRBlocks: 37
; NumSGPRsForWavesPerEU: 27
; NumVGPRsForWavesPerEU: 149
; Occupancy: 1
; WaveLimiterHint : 1
; COMPUTE_PGM_RSRC2:SCRATCH_EN: 0
; COMPUTE_PGM_RSRC2:USER_SGPR: 6
; COMPUTE_PGM_RSRC2:TRAP_HANDLER: 0
; COMPUTE_PGM_RSRC2:TGID_X_EN: 1
; COMPUTE_PGM_RSRC2:TGID_Y_EN: 0
; COMPUTE_PGM_RSRC2:TGID_Z_EN: 0
; COMPUTE_PGM_RSRC2:TIDIG_COMP_CNT: 0
	.type	__hip_cuid_c974a1e2e000ae02,@object ; @__hip_cuid_c974a1e2e000ae02
	.section	.bss,"aw",@nobits
	.globl	__hip_cuid_c974a1e2e000ae02
__hip_cuid_c974a1e2e000ae02:
	.byte	0                               ; 0x0
	.size	__hip_cuid_c974a1e2e000ae02, 1

	.ident	"AMD clang version 19.0.0git (https://github.com/RadeonOpenCompute/llvm-project roc-6.4.0 25133 c7fe45cf4b819c5991fe208aaa96edf142730f1d)"
	.section	".note.GNU-stack","",@progbits
	.addrsig
	.addrsig_sym __hip_cuid_c974a1e2e000ae02
	.amdgpu_metadata
---
amdhsa.kernels:
  - .args:
      - .actual_access:  read_only
        .address_space:  global
        .offset:         0
        .size:           8
        .value_kind:     global_buffer
      - .actual_access:  read_only
        .address_space:  global
        .offset:         8
        .size:           8
        .value_kind:     global_buffer
      - .actual_access:  read_only
        .address_space:  global
        .offset:         16
        .size:           8
        .value_kind:     global_buffer
      - .actual_access:  read_only
        .address_space:  global
        .offset:         24
        .size:           8
        .value_kind:     global_buffer
      - .actual_access:  read_only
        .address_space:  global
        .offset:         32
        .size:           8
        .value_kind:     global_buffer
      - .offset:         40
        .size:           8
        .value_kind:     by_value
      - .address_space:  global
        .offset:         48
        .size:           8
        .value_kind:     global_buffer
      - .address_space:  global
        .offset:         56
        .size:           8
        .value_kind:     global_buffer
      - .address_space:  global
        .offset:         64
        .size:           8
        .value_kind:     global_buffer
      - .address_space:  global
        .offset:         72
        .size:           8
        .value_kind:     global_buffer
      - .offset:         80
        .size:           4
        .value_kind:     by_value
      - .address_space:  global
        .offset:         88
        .size:           8
        .value_kind:     global_buffer
      - .address_space:  global
        .offset:         96
        .size:           8
        .value_kind:     global_buffer
    .group_segment_fixed_size: 7920
    .kernarg_segment_align: 8
    .kernarg_segment_size: 104
    .language:       OpenCL C
    .language_version:
      - 2
      - 0
    .max_flat_workgroup_size: 220
    .name:           bluestein_single_fwd_len99_dim1_half_op_CI_CI
    .private_segment_fixed_size: 0
    .sgpr_count:     27
    .sgpr_spill_count: 0
    .symbol:         bluestein_single_fwd_len99_dim1_half_op_CI_CI.kd
    .uniform_work_group_size: 1
    .uses_dynamic_stack: false
    .vgpr_count:     149
    .vgpr_spill_count: 0
    .wavefront_size: 64
amdhsa.target:   amdgcn-amd-amdhsa--gfx906
amdhsa.version:
  - 1
  - 2
...

	.end_amdgpu_metadata
